;; amdgpu-corpus repo=ROCm/rocFFT kind=compiled arch=gfx1201 opt=O3
	.text
	.amdgcn_target "amdgcn-amd-amdhsa--gfx1201"
	.amdhsa_code_object_version 6
	.protected	fft_rtc_fwd_len3375_factors_5_5_5_3_3_3_wgs_225_tpt_225_halfLds_sp_ip_CI_sbrr_dirReg ; -- Begin function fft_rtc_fwd_len3375_factors_5_5_5_3_3_3_wgs_225_tpt_225_halfLds_sp_ip_CI_sbrr_dirReg
	.globl	fft_rtc_fwd_len3375_factors_5_5_5_3_3_3_wgs_225_tpt_225_halfLds_sp_ip_CI_sbrr_dirReg
	.p2align	8
	.type	fft_rtc_fwd_len3375_factors_5_5_5_3_3_3_wgs_225_tpt_225_halfLds_sp_ip_CI_sbrr_dirReg,@function
fft_rtc_fwd_len3375_factors_5_5_5_3_3_3_wgs_225_tpt_225_halfLds_sp_ip_CI_sbrr_dirReg: ; @fft_rtc_fwd_len3375_factors_5_5_5_3_3_3_wgs_225_tpt_225_halfLds_sp_ip_CI_sbrr_dirReg
; %bb.0:
	s_clause 0x2
	s_load_b64 s[12:13], s[0:1], 0x18
	s_load_b128 s[4:7], s[0:1], 0x0
	s_load_b64 s[10:11], s[0:1], 0x50
	v_mul_u32_u24_e32 v1, 0x124, v0
	v_mov_b32_e32 v3, 0
	s_delay_alu instid0(VALU_DEP_2) | instskip(NEXT) | instid1(VALU_DEP_1)
	v_lshrrev_b32_e32 v1, 16, v1
	v_add_nc_u32_e32 v5, ttmp9, v1
	v_mov_b32_e32 v1, 0
	v_mov_b32_e32 v2, 0
	;; [unrolled: 1-line block ×3, first 2 shown]
	s_wait_kmcnt 0x0
	s_load_b64 s[8:9], s[12:13], 0x0
	v_cmp_lt_u64_e64 s2, s[6:7], 2
	s_delay_alu instid0(VALU_DEP_1)
	s_and_b32 vcc_lo, exec_lo, s2
	s_cbranch_vccnz .LBB0_8
; %bb.1:
	s_load_b64 s[2:3], s[0:1], 0x10
	v_mov_b32_e32 v1, 0
	v_mov_b32_e32 v2, 0
	s_add_nc_u64 s[14:15], s[12:13], 8
	s_mov_b64 s[16:17], 1
	s_wait_kmcnt 0x0
	s_add_nc_u64 s[18:19], s[2:3], 8
	s_mov_b32 s3, 0
.LBB0_2:                                ; =>This Inner Loop Header: Depth=1
	s_load_b64 s[20:21], s[18:19], 0x0
                                        ; implicit-def: $vgpr7_vgpr8
	s_mov_b32 s2, exec_lo
	s_wait_kmcnt 0x0
	v_or_b32_e32 v4, s21, v6
	s_delay_alu instid0(VALU_DEP_1)
	v_cmpx_ne_u64_e32 0, v[3:4]
	s_wait_alu 0xfffe
	s_xor_b32 s22, exec_lo, s2
	s_cbranch_execz .LBB0_4
; %bb.3:                                ;   in Loop: Header=BB0_2 Depth=1
	s_cvt_f32_u32 s2, s20
	s_cvt_f32_u32 s23, s21
	s_sub_nc_u64 s[26:27], 0, s[20:21]
	s_wait_alu 0xfffe
	s_delay_alu instid0(SALU_CYCLE_1) | instskip(SKIP_1) | instid1(SALU_CYCLE_2)
	s_fmamk_f32 s2, s23, 0x4f800000, s2
	s_wait_alu 0xfffe
	v_s_rcp_f32 s2, s2
	s_delay_alu instid0(TRANS32_DEP_1) | instskip(SKIP_1) | instid1(SALU_CYCLE_2)
	s_mul_f32 s2, s2, 0x5f7ffffc
	s_wait_alu 0xfffe
	s_mul_f32 s23, s2, 0x2f800000
	s_wait_alu 0xfffe
	s_delay_alu instid0(SALU_CYCLE_2) | instskip(SKIP_1) | instid1(SALU_CYCLE_2)
	s_trunc_f32 s23, s23
	s_wait_alu 0xfffe
	s_fmamk_f32 s2, s23, 0xcf800000, s2
	s_cvt_u32_f32 s25, s23
	s_wait_alu 0xfffe
	s_delay_alu instid0(SALU_CYCLE_1) | instskip(SKIP_1) | instid1(SALU_CYCLE_2)
	s_cvt_u32_f32 s24, s2
	s_wait_alu 0xfffe
	s_mul_u64 s[28:29], s[26:27], s[24:25]
	s_wait_alu 0xfffe
	s_mul_hi_u32 s31, s24, s29
	s_mul_i32 s30, s24, s29
	s_mul_hi_u32 s2, s24, s28
	s_mul_i32 s33, s25, s28
	s_wait_alu 0xfffe
	s_add_nc_u64 s[30:31], s[2:3], s[30:31]
	s_mul_hi_u32 s23, s25, s28
	s_mul_hi_u32 s34, s25, s29
	s_add_co_u32 s2, s30, s33
	s_wait_alu 0xfffe
	s_add_co_ci_u32 s2, s31, s23
	s_mul_i32 s28, s25, s29
	s_add_co_ci_u32 s29, s34, 0
	s_wait_alu 0xfffe
	s_add_nc_u64 s[28:29], s[2:3], s[28:29]
	s_wait_alu 0xfffe
	v_add_co_u32 v4, s2, s24, s28
	s_delay_alu instid0(VALU_DEP_1) | instskip(SKIP_1) | instid1(VALU_DEP_1)
	s_cmp_lg_u32 s2, 0
	s_add_co_ci_u32 s25, s25, s29
	v_readfirstlane_b32 s24, v4
	s_wait_alu 0xfffe
	s_delay_alu instid0(VALU_DEP_1)
	s_mul_u64 s[26:27], s[26:27], s[24:25]
	s_wait_alu 0xfffe
	s_mul_hi_u32 s29, s24, s27
	s_mul_i32 s28, s24, s27
	s_mul_hi_u32 s2, s24, s26
	s_mul_i32 s30, s25, s26
	s_wait_alu 0xfffe
	s_add_nc_u64 s[28:29], s[2:3], s[28:29]
	s_mul_hi_u32 s23, s25, s26
	s_mul_hi_u32 s24, s25, s27
	s_wait_alu 0xfffe
	s_add_co_u32 s2, s28, s30
	s_add_co_ci_u32 s2, s29, s23
	s_mul_i32 s26, s25, s27
	s_add_co_ci_u32 s27, s24, 0
	s_wait_alu 0xfffe
	s_add_nc_u64 s[26:27], s[2:3], s[26:27]
	s_wait_alu 0xfffe
	v_add_co_u32 v4, s2, v4, s26
	s_delay_alu instid0(VALU_DEP_1) | instskip(SKIP_1) | instid1(VALU_DEP_1)
	s_cmp_lg_u32 s2, 0
	s_add_co_ci_u32 s2, s25, s27
	v_mul_hi_u32 v13, v5, v4
	s_wait_alu 0xfffe
	v_mad_co_u64_u32 v[7:8], null, v5, s2, 0
	v_mad_co_u64_u32 v[9:10], null, v6, v4, 0
	;; [unrolled: 1-line block ×3, first 2 shown]
	s_delay_alu instid0(VALU_DEP_3) | instskip(SKIP_1) | instid1(VALU_DEP_4)
	v_add_co_u32 v4, vcc_lo, v13, v7
	s_wait_alu 0xfffd
	v_add_co_ci_u32_e32 v7, vcc_lo, 0, v8, vcc_lo
	s_delay_alu instid0(VALU_DEP_2) | instskip(SKIP_1) | instid1(VALU_DEP_2)
	v_add_co_u32 v4, vcc_lo, v4, v9
	s_wait_alu 0xfffd
	v_add_co_ci_u32_e32 v4, vcc_lo, v7, v10, vcc_lo
	s_wait_alu 0xfffd
	v_add_co_ci_u32_e32 v7, vcc_lo, 0, v12, vcc_lo
	s_delay_alu instid0(VALU_DEP_2) | instskip(SKIP_1) | instid1(VALU_DEP_2)
	v_add_co_u32 v4, vcc_lo, v4, v11
	s_wait_alu 0xfffd
	v_add_co_ci_u32_e32 v9, vcc_lo, 0, v7, vcc_lo
	s_delay_alu instid0(VALU_DEP_2) | instskip(SKIP_1) | instid1(VALU_DEP_3)
	v_mul_lo_u32 v10, s21, v4
	v_mad_co_u64_u32 v[7:8], null, s20, v4, 0
	v_mul_lo_u32 v11, s20, v9
	s_delay_alu instid0(VALU_DEP_2) | instskip(NEXT) | instid1(VALU_DEP_2)
	v_sub_co_u32 v7, vcc_lo, v5, v7
	v_add3_u32 v8, v8, v11, v10
	s_delay_alu instid0(VALU_DEP_1) | instskip(SKIP_1) | instid1(VALU_DEP_1)
	v_sub_nc_u32_e32 v10, v6, v8
	s_wait_alu 0xfffd
	v_subrev_co_ci_u32_e64 v10, s2, s21, v10, vcc_lo
	v_add_co_u32 v11, s2, v4, 2
	s_wait_alu 0xf1ff
	v_add_co_ci_u32_e64 v12, s2, 0, v9, s2
	v_sub_co_u32 v13, s2, v7, s20
	v_sub_co_ci_u32_e32 v8, vcc_lo, v6, v8, vcc_lo
	s_wait_alu 0xf1ff
	v_subrev_co_ci_u32_e64 v10, s2, 0, v10, s2
	s_delay_alu instid0(VALU_DEP_3) | instskip(NEXT) | instid1(VALU_DEP_3)
	v_cmp_le_u32_e32 vcc_lo, s20, v13
	v_cmp_eq_u32_e64 s2, s21, v8
	s_wait_alu 0xfffd
	v_cndmask_b32_e64 v13, 0, -1, vcc_lo
	v_cmp_le_u32_e32 vcc_lo, s21, v10
	s_wait_alu 0xfffd
	v_cndmask_b32_e64 v14, 0, -1, vcc_lo
	v_cmp_le_u32_e32 vcc_lo, s20, v7
	;; [unrolled: 3-line block ×3, first 2 shown]
	s_wait_alu 0xfffd
	v_cndmask_b32_e64 v15, 0, -1, vcc_lo
	v_cmp_eq_u32_e32 vcc_lo, s21, v10
	s_wait_alu 0xf1ff
	s_delay_alu instid0(VALU_DEP_2)
	v_cndmask_b32_e64 v7, v15, v7, s2
	s_wait_alu 0xfffd
	v_cndmask_b32_e32 v10, v14, v13, vcc_lo
	v_add_co_u32 v13, vcc_lo, v4, 1
	s_wait_alu 0xfffd
	v_add_co_ci_u32_e32 v14, vcc_lo, 0, v9, vcc_lo
	s_delay_alu instid0(VALU_DEP_3) | instskip(SKIP_2) | instid1(VALU_DEP_3)
	v_cmp_ne_u32_e32 vcc_lo, 0, v10
	s_wait_alu 0xfffd
	v_cndmask_b32_e32 v10, v13, v11, vcc_lo
	v_cndmask_b32_e32 v8, v14, v12, vcc_lo
	v_cmp_ne_u32_e32 vcc_lo, 0, v7
	s_wait_alu 0xfffd
	s_delay_alu instid0(VALU_DEP_2)
	v_dual_cndmask_b32 v7, v4, v10 :: v_dual_cndmask_b32 v8, v9, v8
.LBB0_4:                                ;   in Loop: Header=BB0_2 Depth=1
	s_wait_alu 0xfffe
	s_and_not1_saveexec_b32 s2, s22
	s_cbranch_execz .LBB0_6
; %bb.5:                                ;   in Loop: Header=BB0_2 Depth=1
	v_cvt_f32_u32_e32 v4, s20
	s_sub_co_i32 s22, 0, s20
	s_delay_alu instid0(VALU_DEP_1) | instskip(NEXT) | instid1(TRANS32_DEP_1)
	v_rcp_iflag_f32_e32 v4, v4
	v_mul_f32_e32 v4, 0x4f7ffffe, v4
	s_delay_alu instid0(VALU_DEP_1) | instskip(SKIP_1) | instid1(VALU_DEP_1)
	v_cvt_u32_f32_e32 v4, v4
	s_wait_alu 0xfffe
	v_mul_lo_u32 v7, s22, v4
	s_delay_alu instid0(VALU_DEP_1) | instskip(NEXT) | instid1(VALU_DEP_1)
	v_mul_hi_u32 v7, v4, v7
	v_add_nc_u32_e32 v4, v4, v7
	s_delay_alu instid0(VALU_DEP_1) | instskip(NEXT) | instid1(VALU_DEP_1)
	v_mul_hi_u32 v4, v5, v4
	v_mul_lo_u32 v7, v4, s20
	v_add_nc_u32_e32 v8, 1, v4
	s_delay_alu instid0(VALU_DEP_2) | instskip(NEXT) | instid1(VALU_DEP_1)
	v_sub_nc_u32_e32 v7, v5, v7
	v_subrev_nc_u32_e32 v9, s20, v7
	v_cmp_le_u32_e32 vcc_lo, s20, v7
	s_wait_alu 0xfffd
	s_delay_alu instid0(VALU_DEP_2) | instskip(NEXT) | instid1(VALU_DEP_1)
	v_dual_cndmask_b32 v7, v7, v9 :: v_dual_cndmask_b32 v4, v4, v8
	v_cmp_le_u32_e32 vcc_lo, s20, v7
	s_delay_alu instid0(VALU_DEP_2) | instskip(SKIP_1) | instid1(VALU_DEP_1)
	v_add_nc_u32_e32 v8, 1, v4
	s_wait_alu 0xfffd
	v_dual_cndmask_b32 v7, v4, v8 :: v_dual_mov_b32 v8, v3
.LBB0_6:                                ;   in Loop: Header=BB0_2 Depth=1
	s_wait_alu 0xfffe
	s_or_b32 exec_lo, exec_lo, s2
	s_load_b64 s[22:23], s[14:15], 0x0
	s_delay_alu instid0(VALU_DEP_1)
	v_mul_lo_u32 v4, v8, s20
	v_mul_lo_u32 v11, v7, s21
	v_mad_co_u64_u32 v[9:10], null, v7, s20, 0
	s_add_nc_u64 s[16:17], s[16:17], 1
	s_add_nc_u64 s[14:15], s[14:15], 8
	s_wait_alu 0xfffe
	v_cmp_ge_u64_e64 s2, s[16:17], s[6:7]
	s_add_nc_u64 s[18:19], s[18:19], 8
	s_delay_alu instid0(VALU_DEP_2) | instskip(NEXT) | instid1(VALU_DEP_3)
	v_add3_u32 v4, v10, v11, v4
	v_sub_co_u32 v5, vcc_lo, v5, v9
	s_wait_alu 0xfffd
	s_delay_alu instid0(VALU_DEP_2) | instskip(SKIP_3) | instid1(VALU_DEP_2)
	v_sub_co_ci_u32_e32 v4, vcc_lo, v6, v4, vcc_lo
	s_and_b32 vcc_lo, exec_lo, s2
	s_wait_kmcnt 0x0
	v_mul_lo_u32 v6, s23, v5
	v_mul_lo_u32 v4, s22, v4
	v_mad_co_u64_u32 v[1:2], null, s22, v5, v[1:2]
	s_delay_alu instid0(VALU_DEP_1)
	v_add3_u32 v2, v6, v2, v4
	s_wait_alu 0xfffe
	s_cbranch_vccnz .LBB0_9
; %bb.7:                                ;   in Loop: Header=BB0_2 Depth=1
	v_dual_mov_b32 v5, v7 :: v_dual_mov_b32 v6, v8
	s_branch .LBB0_2
.LBB0_8:
	v_dual_mov_b32 v8, v6 :: v_dual_mov_b32 v7, v5
.LBB0_9:
	s_lshl_b64 s[2:3], s[6:7], 3
	v_mul_hi_u32 v3, 0x1234568, v0
	s_wait_alu 0xfffe
	s_add_nc_u64 s[2:3], s[12:13], s[2:3]
	s_load_b64 s[0:1], s[0:1], 0x20
	s_load_b64 s[2:3], s[2:3], 0x0
                                        ; implicit-def: $vgpr47
                                        ; implicit-def: $vgpr48
                                        ; implicit-def: $vgpr49
                                        ; implicit-def: $vgpr50
	s_delay_alu instid0(VALU_DEP_1) | instskip(NEXT) | instid1(VALU_DEP_1)
	v_mul_u32_u24_e32 v3, 0xe1, v3
	v_sub_nc_u32_e32 v36, v0, v3
	s_delay_alu instid0(VALU_DEP_1)
	v_add_nc_u32_e32 v38, 0xe1, v36
	v_add_nc_u32_e32 v35, 0x1c2, v36
	;; [unrolled: 1-line block ×4, first 2 shown]
	s_wait_kmcnt 0x0
	v_cmp_gt_u64_e32 vcc_lo, s[0:1], v[7:8]
	v_mul_lo_u32 v3, s2, v8
	v_mul_lo_u32 v4, s3, v7
	v_mad_co_u64_u32 v[0:1], null, s2, v7, v[1:2]
	v_cmp_le_u64_e64 s0, s[0:1], v[7:8]
	s_delay_alu instid0(VALU_DEP_2) | instskip(NEXT) | instid1(VALU_DEP_2)
	v_add3_u32 v1, v4, v1, v3
	s_and_saveexec_b32 s1, s0
	s_wait_alu 0xfffe
	s_xor_b32 s0, exec_lo, s1
; %bb.10:
	v_add_nc_u32_e32 v47, 0xe1, v36
	v_add_nc_u32_e32 v48, 0x1c2, v36
	;; [unrolled: 1-line block ×4, first 2 shown]
; %bb.11:
	s_wait_alu 0xfffe
	s_or_saveexec_b32 s1, s0
	v_lshlrev_b64_e32 v[20:21], 3, v[0:1]
	v_add_nc_u32_e32 v43, 0x546, v36
	v_add_nc_u32_e32 v40, 0xa8c, v36
	v_add_nc_u32_e32 v41, 0x627, v36
	v_add_nc_u32_e32 v44, 0x8ca, v36
	v_add_nc_u32_e32 v39, 0xb6d, v36
	v_add_nc_u32_e32 v46, 0x465, v36
	v_add_nc_u32_e32 v42, 0x708, v36
	v_add_nc_u32_e32 v45, 0x9ab, v36
                                        ; implicit-def: $vgpr13
                                        ; implicit-def: $vgpr7
                                        ; implicit-def: $vgpr11
                                        ; implicit-def: $vgpr9
                                        ; implicit-def: $vgpr5
                                        ; implicit-def: $vgpr29
                                        ; implicit-def: $vgpr27
                                        ; implicit-def: $vgpr17
                                        ; implicit-def: $vgpr15
                                        ; implicit-def: $vgpr3
                                        ; implicit-def: $vgpr31
                                        ; implicit-def: $vgpr19
                                        ; implicit-def: $vgpr25
                                        ; implicit-def: $vgpr23
                                        ; implicit-def: $vgpr1
	s_wait_alu 0xfffe
	s_xor_b32 exec_lo, exec_lo, s1
	s_cbranch_execz .LBB0_13
; %bb.12:
	v_mad_co_u64_u32 v[0:1], null, s8, v36, 0
	v_mad_co_u64_u32 v[2:3], null, s8, v34, 0
	v_add_co_u32 v51, s0, s10, v20
	s_wait_alu 0xf1ff
	v_add_co_ci_u32_e64 v52, s0, s11, v21, s0
	v_mad_co_u64_u32 v[12:13], null, s8, v38, 0
	s_delay_alu instid0(VALU_DEP_4)
	v_mad_co_u64_u32 v[4:5], null, s9, v36, v[1:2]
	v_mad_co_u64_u32 v[5:6], null, s8, v43, 0
	v_add_nc_u32_e32 v11, 0x7e9, v36
	v_mov_b32_e32 v1, v3
	v_mad_co_u64_u32 v[26:27], null, s8, v41, 0
	v_mad_co_u64_u32 v[32:33], null, s8, v46, 0
	s_delay_alu instid0(VALU_DEP_3) | instskip(SKIP_3) | instid1(VALU_DEP_4)
	v_mad_co_u64_u32 v[9:10], null, s9, v34, v[1:2]
	v_dual_mov_b32 v1, v4 :: v_dual_mov_b32 v4, v6
	v_mad_co_u64_u32 v[7:8], null, s8, v11, 0
	v_add_nc_u32_e32 v53, 0xc4e, v36
	v_mov_b32_e32 v3, v9
	s_delay_alu instid0(VALU_DEP_2) | instskip(NEXT) | instid1(VALU_DEP_4)
	v_mad_co_u64_u32 v[47:48], null, s8, v53, 0
	v_mov_b32_e32 v6, v8
	v_mad_co_u64_u32 v[8:9], null, s9, v43, v[4:5]
	s_delay_alu instid0(VALU_DEP_2) | instskip(SKIP_1) | instid1(VALU_DEP_3)
	v_mad_co_u64_u32 v[9:10], null, s9, v11, v[6:7]
	v_mad_co_u64_u32 v[10:11], null, s8, v40, 0
	v_mov_b32_e32 v6, v8
	v_lshlrev_b64_e32 v[0:1], 3, v[0:1]
	s_delay_alu instid0(VALU_DEP_4) | instskip(SKIP_1) | instid1(VALU_DEP_4)
	v_mov_b32_e32 v8, v9
	v_lshlrev_b64_e32 v[2:3], 3, v[2:3]
	v_lshlrev_b64_e32 v[4:5], 3, v[5:6]
	s_delay_alu instid0(VALU_DEP_4) | instskip(NEXT) | instid1(VALU_DEP_4)
	v_add_co_u32 v0, s0, v51, v0
	v_lshlrev_b64_e32 v[7:8], 3, v[7:8]
	v_mov_b32_e32 v6, v11
	s_wait_alu 0xf1ff
	v_add_co_ci_u32_e64 v1, s0, v52, v1, s0
	v_add_co_u32 v2, s0, v51, v2
	s_wait_alu 0xf1ff
	v_add_co_ci_u32_e64 v3, s0, v52, v3, s0
	v_add_co_u32 v4, s0, v51, v4
	v_mad_co_u64_u32 v[14:15], null, s9, v40, v[6:7]
	s_wait_alu 0xf1ff
	v_add_co_ci_u32_e64 v5, s0, v52, v5, s0
	v_mov_b32_e32 v6, v13
	v_mad_co_u64_u32 v[15:16], null, s8, v37, 0
	v_add_co_u32 v7, s0, v51, v7
	v_mov_b32_e32 v11, v14
	s_wait_alu 0xf1ff
	v_add_co_ci_u32_e64 v8, s0, v52, v8, s0
	s_delay_alu instid0(VALU_DEP_3)
	v_mad_co_u64_u32 v[13:14], null, s9, v38, v[6:7]
	v_mov_b32_e32 v6, v16
	s_clause 0x3
	global_load_b64 v[0:1], v[0:1], off
	global_load_b64 v[22:23], v[2:3], off
	;; [unrolled: 1-line block ×4, first 2 shown]
	v_lshlrev_b64_e32 v[2:3], 3, v[10:11]
	v_mad_co_u64_u32 v[4:5], null, s9, v37, v[6:7]
	v_lshlrev_b64_e32 v[6:7], 3, v[12:13]
	v_mov_b32_e32 v5, v27
	v_mad_co_u64_u32 v[11:12], null, s8, v39, 0
	v_add_co_u32 v2, s0, v51, v2
	s_delay_alu instid0(VALU_DEP_3)
	v_mad_co_u64_u32 v[8:9], null, s9, v41, v[5:6]
	v_mad_co_u64_u32 v[9:10], null, s8, v44, 0
	v_mov_b32_e32 v16, v4
	s_wait_alu 0xf1ff
	v_add_co_ci_u32_e64 v3, s0, v52, v3, s0
	v_add_co_u32 v4, s0, v51, v6
	s_delay_alu instid0(VALU_DEP_4) | instskip(SKIP_3) | instid1(VALU_DEP_3)
	v_dual_mov_b32 v27, v8 :: v_dual_mov_b32 v8, v10
	s_wait_alu 0xf1ff
	v_add_co_ci_u32_e64 v5, s0, v52, v7, s0
	v_lshlrev_b64_e32 v[6:7], 3, v[15:16]
	v_lshlrev_b64_e32 v[13:14], 3, v[26:27]
	v_mad_co_u64_u32 v[15:16], null, s9, v44, v[8:9]
	v_mov_b32_e32 v8, v12
	v_mad_co_u64_u32 v[26:27], null, s8, v35, 0
	v_add_co_u32 v6, s0, v51, v6
	s_delay_alu instid0(VALU_DEP_3)
	v_mad_co_u64_u32 v[28:29], null, s9, v39, v[8:9]
	s_wait_alu 0xf1ff
	v_add_co_ci_u32_e64 v7, s0, v52, v7, s0
	v_add_co_u32 v12, s0, v51, v13
	s_wait_alu 0xf1ff
	v_add_co_ci_u32_e64 v13, s0, v52, v14, s0
	v_mov_b32_e32 v10, v15
	s_clause 0x3
	global_load_b64 v[30:31], v[2:3], off
	global_load_b64 v[2:3], v[4:5], off
	;; [unrolled: 1-line block ×4, first 2 shown]
	v_mov_b32_e32 v12, v28
	v_lshlrev_b64_e32 v[4:5], 3, v[9:10]
	s_delay_alu instid0(VALU_DEP_2) | instskip(SKIP_2) | instid1(VALU_DEP_4)
	v_lshlrev_b64_e32 v[10:11], 3, v[11:12]
	v_mad_co_u64_u32 v[12:13], null, s8, v45, 0
	v_mov_b32_e32 v8, v27
	v_add_co_u32 v4, s0, v51, v4
	s_wait_alu 0xf1ff
	v_add_co_ci_u32_e64 v5, s0, v52, v5, s0
	s_delay_alu instid0(VALU_DEP_3)
	v_mad_co_u64_u32 v[6:7], null, s9, v35, v[8:9]
	v_mad_co_u64_u32 v[8:9], null, s8, v42, 0
	v_mov_b32_e32 v7, v33
	v_add_co_u32 v10, s0, v51, v10
	s_wait_alu 0xf1ff
	v_add_co_ci_u32_e64 v11, s0, v52, v11, s0
	v_mov_b32_e32 v27, v6
	v_mad_co_u64_u32 v[6:7], null, s9, v46, v[7:8]
	v_mov_b32_e32 v7, v9
	s_delay_alu instid0(VALU_DEP_3) | instskip(NEXT) | instid1(VALU_DEP_2)
	v_lshlrev_b64_e32 v[26:27], 3, v[26:27]
	v_mad_co_u64_u32 v[28:29], null, s9, v42, v[7:8]
	v_mov_b32_e32 v7, v13
	v_mov_b32_e32 v33, v6
	s_delay_alu instid0(VALU_DEP_4)
	v_add_co_u32 v49, s0, v51, v26
	s_wait_alu 0xf1ff
	v_add_co_ci_u32_e64 v50, s0, v52, v27, s0
	v_mad_co_u64_u32 v[6:7], null, s9, v45, v[7:8]
	v_mov_b32_e32 v7, v48
	v_mov_b32_e32 v9, v28
	v_lshlrev_b64_e32 v[26:27], 3, v[32:33]
	s_delay_alu instid0(VALU_DEP_3) | instskip(SKIP_1) | instid1(VALU_DEP_3)
	v_mad_co_u64_u32 v[28:29], null, s9, v53, v[7:8]
	v_mov_b32_e32 v13, v6
	v_add_co_u32 v32, s0, v51, v26
	s_wait_alu 0xf1ff
	s_delay_alu instid0(VALU_DEP_4) | instskip(NEXT) | instid1(VALU_DEP_3)
	v_add_co_ci_u32_e64 v33, s0, v52, v27, s0
	v_lshlrev_b64_e32 v[12:13], 3, v[12:13]
	v_mov_b32_e32 v48, v28
	v_lshlrev_b64_e32 v[7:8], 3, v[8:9]
	s_delay_alu instid0(VALU_DEP_1) | instskip(SKIP_1) | instid1(VALU_DEP_2)
	v_add_co_u32 v6, s0, v51, v7
	s_wait_alu 0xf1ff
	v_add_co_ci_u32_e64 v7, s0, v52, v8, s0
	v_lshlrev_b64_e32 v[8:9], 3, v[47:48]
	v_add_co_u32 v12, s0, v51, v12
	s_wait_alu 0xf1ff
	v_add_co_ci_u32_e64 v13, s0, v52, v13, s0
	s_delay_alu instid0(VALU_DEP_3)
	v_add_co_u32 v47, s0, v51, v8
	s_wait_alu 0xf1ff
	v_add_co_ci_u32_e64 v48, s0, v52, v9, s0
	s_clause 0x6
	global_load_b64 v[26:27], v[4:5], off
	global_load_b64 v[28:29], v[10:11], off
	;; [unrolled: 1-line block ×7, first 2 shown]
	v_mov_b32_e32 v48, v35
	v_dual_mov_b32 v50, v37 :: v_dual_mov_b32 v49, v34
	v_mov_b32_e32 v47, v38
.LBB0_13:
	s_or_b32 exec_lo, exec_lo, s1
	s_wait_loadcnt 0xa
	v_dual_add_f32 v32, v18, v24 :: v_dual_sub_f32 v51, v23, v31
	v_dual_add_f32 v33, v22, v0 :: v_dual_sub_f32 v52, v25, v19
	v_dual_sub_f32 v53, v22, v24 :: v_dual_sub_f32 v56, v24, v22
	s_delay_alu instid0(VALU_DEP_3) | instskip(NEXT) | instid1(VALU_DEP_3)
	v_fma_f32 v32, -0.5, v32, v0
	v_dual_sub_f32 v54, v30, v18 :: v_dual_add_f32 v33, v24, v33
	v_add_f32_e32 v55, v30, v22
	v_dual_add_f32 v59, v19, v25 :: v_dual_sub_f32 v22, v22, v30
	s_delay_alu instid0(VALU_DEP_4) | instskip(NEXT) | instid1(VALU_DEP_4)
	v_fmamk_f32 v57, v51, 0x3f737871, v32
	v_dual_fmac_f32 v32, 0xbf737871, v51 :: v_dual_add_f32 v53, v54, v53
	s_delay_alu instid0(VALU_DEP_4) | instskip(SKIP_1) | instid1(VALU_DEP_3)
	v_dual_fmac_f32 v0, -0.5, v55 :: v_dual_add_f32 v33, v18, v33
	v_sub_f32_e32 v54, v18, v30
	v_fmac_f32_e32 v32, 0xbf167918, v52
	v_dual_fmac_f32 v57, 0x3f167918, v52 :: v_dual_add_f32 v58, v23, v1
	s_delay_alu instid0(VALU_DEP_3) | instskip(SKIP_2) | instid1(VALU_DEP_4)
	v_dual_fmamk_f32 v55, v52, 0xbf737871, v0 :: v_dual_add_f32 v54, v54, v56
	v_dual_add_f32 v33, v30, v33 :: v_dual_fmac_f32 v0, 0x3f737871, v52
	v_fma_f32 v59, -0.5, v59, v1
	v_dual_fmac_f32 v57, 0x3e9e377a, v53 :: v_dual_add_f32 v52, v25, v58
	s_delay_alu instid0(VALU_DEP_4) | instskip(NEXT) | instid1(VALU_DEP_4)
	v_fmac_f32_e32 v55, 0x3f167918, v51
	v_fmac_f32_e32 v0, 0xbf167918, v51
	s_delay_alu instid0(VALU_DEP_4) | instskip(NEXT) | instid1(VALU_DEP_4)
	v_dual_fmamk_f32 v60, v22, 0xbf737871, v59 :: v_dual_add_f32 v51, v31, v23
	v_add_f32_e32 v30, v19, v52
	v_sub_f32_e32 v18, v24, v18
	v_dual_sub_f32 v24, v23, v25 :: v_dual_fmac_f32 v59, 0x3f737871, v22
	s_delay_alu instid0(VALU_DEP_4) | instskip(SKIP_3) | instid1(VALU_DEP_3)
	v_fmac_f32_e32 v1, -0.5, v51
	v_sub_f32_e32 v52, v31, v19
	v_dual_add_f32 v30, v31, v30 :: v_dual_sub_f32 v23, v25, v23
	v_dual_sub_f32 v19, v19, v31 :: v_dual_fmac_f32 v60, 0xbf167918, v18
	v_dual_fmamk_f32 v61, v18, 0x3f737871, v1 :: v_dual_add_f32 v24, v52, v24
	v_fmac_f32_e32 v59, 0x3f167918, v18
	s_wait_loadcnt 0x6
	v_dual_add_f32 v25, v26, v16 :: v_dual_fmac_f32 v0, 0x3e9e377a, v54
	s_delay_alu instid0(VALU_DEP_3)
	v_dual_add_f32 v19, v19, v23 :: v_dual_fmac_f32 v60, 0x3e9e377a, v24
	v_add_f32_e32 v23, v14, v2
	v_fmac_f32_e32 v61, 0xbf167918, v22
	s_wait_loadcnt 0x5
	v_dual_fmac_f32 v59, 0x3e9e377a, v24 :: v_dual_sub_f32 v52, v28, v26
	v_sub_f32_e32 v51, v14, v16
	v_dual_fmac_f32 v1, 0xbf737871, v18 :: v_dual_add_f32 v18, v16, v23
	v_fma_f32 v25, -0.5, v25, v2
	v_dual_sub_f32 v31, v15, v29 :: v_dual_sub_f32 v24, v17, v27
	s_delay_alu instid0(VALU_DEP_3) | instskip(SKIP_3) | instid1(VALU_DEP_4)
	v_dual_fmac_f32 v61, 0x3e9e377a, v19 :: v_dual_add_f32 v18, v26, v18
	v_dual_fmac_f32 v32, 0x3e9e377a, v53 :: v_dual_fmac_f32 v55, 0x3e9e377a, v54
	v_add_f32_e32 v53, v28, v14
	v_dual_fmac_f32 v1, 0x3f167918, v22 :: v_dual_add_f32 v54, v27, v17
	v_add_f32_e32 v18, v28, v18
	v_add_f32_e32 v22, v52, v51
	v_dual_sub_f32 v52, v26, v28 :: v_dual_fmamk_f32 v23, v31, 0x3f737871, v25
	s_delay_alu instid0(VALU_DEP_4)
	v_dual_fmac_f32 v2, -0.5, v53 :: v_dual_fmac_f32 v1, 0x3e9e377a, v19
	v_fmac_f32_e32 v25, 0xbf737871, v31
	v_sub_f32_e32 v51, v16, v14
	v_fma_f32 v62, -0.5, v54, v3
	v_dual_sub_f32 v14, v14, v28 :: v_dual_add_f32 v53, v15, v3
	v_fmac_f32_e32 v23, 0x3f167918, v24
	v_fmamk_f32 v19, v24, 0xbf737871, v2
	v_fmac_f32_e32 v2, 0x3f737871, v24
	s_delay_alu instid0(VALU_DEP_4) | instskip(NEXT) | instid1(VALU_DEP_4)
	v_dual_fmac_f32 v25, 0xbf167918, v24 :: v_dual_add_f32 v24, v17, v53
	v_dual_fmac_f32 v23, 0x3e9e377a, v22 :: v_dual_add_f32 v28, v29, v15
	s_delay_alu instid0(VALU_DEP_3) | instskip(NEXT) | instid1(VALU_DEP_3)
	v_fmac_f32_e32 v2, 0xbf167918, v31
	v_dual_fmac_f32 v25, 0x3e9e377a, v22 :: v_dual_add_f32 v22, v27, v24
	v_fmamk_f32 v24, v14, 0xbf737871, v62
	v_sub_f32_e32 v16, v16, v26
	v_dual_sub_f32 v26, v15, v17 :: v_dual_fmac_f32 v19, 0x3f167918, v31
	s_delay_alu instid0(VALU_DEP_4) | instskip(SKIP_1) | instid1(VALU_DEP_4)
	v_add_f32_e32 v22, v29, v22
	v_sub_f32_e32 v31, v29, v27
	v_dual_add_f32 v51, v52, v51 :: v_dual_fmac_f32 v24, 0xbf167918, v16
	v_dual_fmac_f32 v3, -0.5, v28 :: v_dual_fmac_f32 v62, 0x3f737871, v14
	s_delay_alu instid0(VALU_DEP_2) | instskip(NEXT) | instid1(VALU_DEP_2)
	v_dual_add_f32 v26, v31, v26 :: v_dual_fmac_f32 v19, 0x3e9e377a, v51
	v_dual_sub_f32 v15, v17, v15 :: v_dual_fmamk_f32 v28, v16, 0x3f737871, v3
	s_delay_alu instid0(VALU_DEP_2) | instskip(SKIP_2) | instid1(VALU_DEP_2)
	v_dual_sub_f32 v17, v27, v29 :: v_dual_fmac_f32 v24, 0x3e9e377a, v26
	s_wait_loadcnt 0x1
	v_dual_fmac_f32 v62, 0x3f167918, v16 :: v_dual_add_f32 v27, v6, v10
	v_dual_fmac_f32 v28, 0xbf167918, v14 :: v_dual_add_f32 v15, v17, v15
	v_fmac_f32_e32 v3, 0xbf737871, v16
	v_add_f32_e32 v16, v8, v4
	s_delay_alu instid0(VALU_DEP_4)
	v_fma_f32 v17, -0.5, v27, v4
	s_wait_loadcnt 0x0
	v_dual_sub_f32 v27, v9, v13 :: v_dual_fmac_f32 v2, 0x3e9e377a, v51
	v_dual_fmac_f32 v62, 0x3e9e377a, v26 :: v_dual_add_f32 v51, v12, v8
	v_dual_fmac_f32 v28, 0x3e9e377a, v15 :: v_dual_sub_f32 v29, v8, v10
	v_dual_sub_f32 v26, v11, v7 :: v_dual_fmac_f32 v3, 0x3f167918, v14
	v_add_f32_e32 v14, v10, v16
	v_dual_fmamk_f32 v16, v27, 0x3f737871, v17 :: v_dual_sub_f32 v31, v12, v6
	v_fmac_f32_e32 v17, 0xbf737871, v27
	v_fmac_f32_e32 v4, -0.5, v51
	s_delay_alu instid0(VALU_DEP_4) | instskip(NEXT) | instid1(VALU_DEP_4)
	v_add_f32_e32 v14, v6, v14
	v_dual_fmac_f32 v16, 0x3f167918, v26 :: v_dual_add_f32 v29, v31, v29
	s_delay_alu instid0(VALU_DEP_4) | instskip(NEXT) | instid1(VALU_DEP_3)
	v_fmac_f32_e32 v17, 0xbf167918, v26
	v_dual_fmac_f32 v3, 0x3e9e377a, v15 :: v_dual_add_f32 v14, v12, v14
	s_delay_alu instid0(VALU_DEP_3) | instskip(NEXT) | instid1(VALU_DEP_3)
	v_dual_add_f32 v31, v7, v11 :: v_dual_fmac_f32 v16, 0x3e9e377a, v29
	v_dual_fmac_f32 v17, 0x3e9e377a, v29 :: v_dual_sub_f32 v52, v6, v12
	v_add_f32_e32 v29, v9, v5
	v_fmamk_f32 v15, v26, 0xbf737871, v4
	v_dual_fmac_f32 v4, 0x3f737871, v26 :: v_dual_sub_f32 v51, v10, v8
	v_lshlrev_b32_e32 v56, 4, v47
	s_delay_alu instid0(VALU_DEP_4) | instskip(SKIP_1) | instid1(VALU_DEP_4)
	v_add_f32_e32 v26, v11, v29
	v_fma_f32 v29, -0.5, v31, v5
	v_fmac_f32_e32 v4, 0xbf167918, v27
	v_dual_sub_f32 v8, v8, v12 :: v_dual_fmac_f32 v15, 0x3f167918, v27
	v_dual_add_f32 v12, v52, v51 :: v_dual_add_f32 v31, v13, v9
	s_delay_alu instid0(VALU_DEP_2) | instskip(NEXT) | instid1(VALU_DEP_2)
	v_dual_add_f32 v26, v7, v26 :: v_dual_fmamk_f32 v27, v8, 0xbf737871, v29
	v_dual_sub_f32 v6, v10, v6 :: v_dual_fmac_f32 v15, 0x3e9e377a, v12
	s_delay_alu instid0(VALU_DEP_3) | instskip(NEXT) | instid1(VALU_DEP_3)
	v_dual_fmac_f32 v4, 0x3e9e377a, v12 :: v_dual_fmac_f32 v5, -0.5, v31
	v_dual_add_f32 v26, v13, v26 :: v_dual_fmac_f32 v29, 0x3f737871, v8
	s_delay_alu instid0(VALU_DEP_3) | instskip(NEXT) | instid1(VALU_DEP_3)
	v_dual_fmac_f32 v27, 0xbf167918, v6 :: v_dual_sub_f32 v10, v9, v11
	v_dual_sub_f32 v12, v13, v7 :: v_dual_fmamk_f32 v31, v6, 0x3f737871, v5
	v_sub_f32_e32 v9, v11, v9
	v_sub_f32_e32 v7, v7, v13
	v_mad_u32_u24 v13, v36, 20, 0
	s_delay_alu instid0(VALU_DEP_4)
	v_add_f32_e32 v10, v12, v10
	v_fmac_f32_e32 v29, 0x3f167918, v6
	ds_store_2addr_b32 v13, v33, v57 offset1:1
	ds_store_2addr_b32 v13, v55, v0 offset0:2 offset1:3
	ds_store_b32 v13, v32 offset:16
	v_dual_fmac_f32 v5, 0xbf737871, v6 :: v_dual_lshlrev_b32 v0, 4, v36
	v_dual_add_f32 v6, v7, v9 :: v_dual_and_b32 v9, 0xff, v36
	v_mad_i32_i24 v51, v47, 20, 0
	v_mad_i32_i24 v52, v48, 20, 0
	s_delay_alu instid0(VALU_DEP_4)
	v_sub_nc_u32_e32 v53, v13, v0
	v_fmac_f32_e32 v31, 0xbf167918, v8
	v_mul_lo_u16 v0, 0xcd, v9
	v_fmac_f32_e32 v5, 0x3f167918, v8
	ds_store_2addr_b32 v51, v18, v23 offset1:1
	ds_store_2addr_b32 v51, v19, v2 offset0:2 offset1:3
	ds_store_b32 v51, v25 offset:16
	ds_store_2addr_b32 v52, v14, v16 offset1:1
	ds_store_2addr_b32 v52, v15, v4 offset0:2 offset1:3
	ds_store_b32 v52, v17 offset:16
	v_add_nc_u32_e32 v2, 0x1500, v53
	v_lshrrev_b16 v15, 10, v0
	v_fmac_f32_e32 v31, 0x3e9e377a, v6
	v_fmac_f32_e32 v5, 0x3e9e377a, v6
	v_add_nc_u32_e32 v4, 0x1c00, v53
	v_add_nc_u32_e32 v6, 0x2a00, v53
	v_lshlrev_b32_e32 v55, 4, v48
	v_fmac_f32_e32 v27, 0x3e9e377a, v10
	v_fmac_f32_e32 v29, 0x3e9e377a, v10
	global_wb scope:SCOPE_SE
	s_wait_dscnt 0x0
	s_barrier_signal -1
	s_barrier_wait -1
	global_inv scope:SCOPE_SE
	ds_load_b32 v10, v53
	ds_load_2addr_b32 v[17:18], v2 offset0:6 offset1:231
	ds_load_2addr_b32 v[71:72], v4 offset0:8 offset1:233
	v_add_nc_u32_e32 v8, 0xe00, v53
	v_sub_nc_u32_e32 v58, v51, v56
	v_mul_lo_u16 v14, v15, 5
	v_lshl_add_u32 v54, v49, 2, 0
	ds_load_2addr_b32 v[73:74], v6 offset0:12 offset1:237
	v_add_nc_u32_e32 v7, 0x2300, v53
	v_sub_nc_u32_e32 v57, v52, v55
	ds_load_2addr_b32 v[75:76], v8 offset0:4 offset1:229
	ds_load_2addr_b32 v[77:78], v7 offset0:10 offset1:235
	ds_load_b32 v11, v57
	ds_load_b32 v12, v58
	;; [unrolled: 1-line block ×3, first 2 shown]
	ds_load_b32 v89, v53 offset:12600
	global_wb scope:SCOPE_SE
	s_wait_dscnt 0x0
	s_barrier_signal -1
	s_barrier_wait -1
	global_inv scope:SCOPE_SE
	ds_store_2addr_b32 v13, v30, v60 offset1:1
	ds_store_2addr_b32 v13, v61, v1 offset0:2 offset1:3
	ds_store_b32 v13, v59 offset:16
	v_sub_nc_u16 v13, v36, v14
	v_and_b32_e32 v1, 0xffff, v48
	ds_store_2addr_b32 v51, v22, v24 offset1:1
	ds_store_2addr_b32 v51, v28, v3 offset0:2 offset1:3
	ds_store_b32 v51, v62 offset:16
	ds_store_2addr_b32 v52, v26, v27 offset1:1
	ds_store_2addr_b32 v52, v31, v5 offset0:2 offset1:3
	ds_store_b32 v52, v29 offset:16
	global_wb scope:SCOPE_SE
	s_wait_dscnt 0x0
	v_and_b32_e32 v3, 0xff, v13
	v_mul_u32_u24_e32 v13, 0xcccd, v1
	s_barrier_signal -1
	s_barrier_wait -1
	global_inv scope:SCOPE_SE
	v_and_b32_e32 v15, 0xffff, v15
	v_lshrrev_b32_e32 v90, 18, v13
	v_lshlrev_b32_e32 v13, 5, v3
	v_cmp_gt_u32_e64 s0, 0x7d, v36
	s_delay_alu instid0(VALU_DEP_4) | instskip(SKIP_4) | instid1(VALU_DEP_1)
	v_mul_u32_u24_e32 v15, 0x64, v15
	s_clause 0x1
	global_load_b128 v[22:25], v13, s[4:5]
	global_load_b128 v[26:29], v13, s[4:5] offset:16
	v_and_b32_e32 v0, 0xffff, v47
	v_mul_u32_u24_e32 v16, 0xcccd, v0
	s_delay_alu instid0(VALU_DEP_1) | instskip(NEXT) | instid1(VALU_DEP_1)
	v_lshrrev_b32_e32 v16, 18, v16
	v_mul_lo_u16 v14, v16, 5
	v_mul_u32_u24_e32 v16, 0x64, v16
	s_delay_alu instid0(VALU_DEP_2) | instskip(SKIP_1) | instid1(VALU_DEP_2)
	v_sub_nc_u16 v5, v47, v14
	v_mul_lo_u16 v14, v90, 5
	v_and_b32_e32 v91, 0xffff, v5
	s_delay_alu instid0(VALU_DEP_2) | instskip(NEXT) | instid1(VALU_DEP_2)
	v_sub_nc_u16 v5, v48, v14
	v_lshlrev_b32_e32 v14, 5, v91
	global_load_b128 v[30:33], v14, s[4:5]
	v_and_b32_e32 v92, 0xffff, v5
	s_delay_alu instid0(VALU_DEP_1)
	v_lshlrev_b32_e32 v5, 5, v92
	s_clause 0x2
	global_load_b128 v[59:62], v14, s[4:5] offset:16
	global_load_b128 v[63:66], v5, s[4:5]
	global_load_b128 v[67:70], v5, s[4:5] offset:16
	ds_load_b32 v93, v54
	ds_load_2addr_b32 v[79:80], v2 offset0:6 offset1:231
	ds_load_2addr_b32 v[81:82], v4 offset0:8 offset1:233
	;; [unrolled: 1-line block ×5, first 2 shown]
	ds_load_b32 v14, v53
	ds_load_b32 v13, v58
	ds_load_b32 v5, v57
	ds_load_b32 v94, v53 offset:12600
	global_wb scope:SCOPE_SE
	s_wait_loadcnt_dscnt 0x0
	s_barrier_signal -1
	s_barrier_wait -1
	global_inv scope:SCOPE_SE
	v_dual_mul_f32 v95, v93, v23 :: v_dual_mul_f32 v96, v79, v25
	v_mul_f32_e32 v25, v17, v25
	v_mul_f32_e32 v98, v83, v29
	;; [unrolled: 1-line block ×5, first 2 shown]
	v_fma_f32 v19, v19, v22, -v95
	v_fma_f32 v17, v17, v24, -v96
	v_fmac_f32_e32 v25, v79, v24
	v_fma_f32 v24, v73, v28, -v98
	v_fmac_f32_e32 v23, v93, v22
	v_fma_f32 v22, v72, v26, -v97
	v_dual_sub_f32 v72, v19, v17 :: v_dual_mul_f32 v99, v85, v31
	v_mul_f32_e32 v100, v80, v33
	v_lshlrev_b32_e32 v92, 2, v92
	v_dual_mul_f32 v102, v84, v62 :: v_dual_mul_f32 v103, v86, v64
	v_mul_f32_e32 v64, v76, v64
	v_mul_f32_e32 v101, v87, v60
	;; [unrolled: 1-line block ×3, first 2 shown]
	v_dual_mul_f32 v29, v73, v29 :: v_dual_mul_f32 v62, v74, v62
	v_dual_mul_f32 v104, v81, v66 :: v_dual_lshlrev_b32 v3, 2, v3
	s_delay_alu instid0(VALU_DEP_3) | instskip(NEXT) | instid1(VALU_DEP_3)
	v_fmac_f32_e32 v60, v87, v59
	v_fmac_f32_e32 v29, v83, v28
	v_fma_f32 v28, v74, v61, -v102
	v_dual_add_f32 v74, v19, v24 :: v_dual_fmac_f32 v27, v82, v26
	v_fma_f32 v26, v75, v30, -v99
	v_mul_f32_e32 v66, v71, v66
	v_mul_f32_e32 v106, v94, v70
	v_dual_mul_f32 v70, v89, v70 :: v_dual_mul_f32 v31, v75, v31
	v_fmac_f32_e32 v62, v84, v61
	v_add_f32_e32 v84, v12, v26
	v_mul_f32_e32 v105, v88, v68
	v_mul_f32_e32 v68, v78, v68
	v_mul_f32_e32 v33, v18, v33
	v_fma_f32 v18, v18, v32, -v100
	v_dual_fmac_f32 v66, v81, v65 :: v_dual_lshlrev_b32 v91, 2, v91
	v_fmac_f32_e32 v64, v86, v63
	v_fma_f32 v61, v78, v67, -v105
	v_fmac_f32_e32 v68, v88, v67
	v_dual_fmac_f32 v70, v94, v69 :: v_dual_fmac_f32 v31, v85, v30
	v_fma_f32 v30, v77, v59, -v101
	v_fma_f32 v59, v71, v65, -v104
	v_dual_sub_f32 v88, v26, v18 :: v_dual_fmac_f32 v33, v80, v32
	v_add_f32_e32 v82, v23, v29
	v_fma_f32 v32, v76, v63, -v103
	v_sub_f32_e32 v76, v22, v24
	v_dual_add_f32 v65, v10, v19 :: v_dual_sub_f32 v86, v31, v62
	v_dual_sub_f32 v80, v23, v25 :: v_dual_sub_f32 v71, v25, v27
	v_sub_f32_e32 v79, v17, v22
	v_sub_f32_e32 v81, v29, v27
	;; [unrolled: 1-line block ×3, first 2 shown]
	v_add_f32_e32 v67, v17, v22
	v_fma_f32 v63, v89, v69, -v106
	v_dual_sub_f32 v69, v23, v29 :: v_dual_sub_f32 v94, v18, v26
	v_dual_add_f32 v78, v25, v27 :: v_dual_add_f32 v93, v26, v28
	v_sub_f32_e32 v73, v24, v22
	v_add_f32_e32 v17, v65, v17
	v_fma_f32 v65, -0.5, v67, v10
	v_add_f32_e32 v77, v14, v23
	v_dual_sub_f32 v19, v19, v24 :: v_dual_fmac_f32 v10, -0.5, v74
	s_delay_alu instid0(VALU_DEP_4) | instskip(NEXT) | instid1(VALU_DEP_4)
	v_add_f32_e32 v17, v17, v22
	v_dual_fmamk_f32 v22, v69, 0x3f737871, v65 :: v_dual_add_f32 v67, v72, v73
	v_fma_f32 v73, -0.5, v78, v14
	v_fmac_f32_e32 v14, -0.5, v82
	v_add_f32_e32 v74, v80, v81
	v_dual_fmamk_f32 v78, v71, 0xbf737871, v10 :: v_dual_add_f32 v85, v18, v30
	v_dual_sub_f32 v83, v27, v29 :: v_dual_fmac_f32 v10, 0x3f737871, v71
	s_delay_alu instid0(VALU_DEP_4)
	v_fmamk_f32 v80, v79, 0x3f737871, v14
	v_dual_fmac_f32 v14, 0xbf737871, v79 :: v_dual_sub_f32 v87, v33, v60
	v_fmac_f32_e32 v22, 0x3f167918, v71
	v_add_f32_e32 v72, v75, v76
	v_fma_f32 v76, -0.5, v85, v12
	v_dual_sub_f32 v23, v25, v23 :: v_dual_fmac_f32 v78, 0x3f167918, v69
	v_fmac_f32_e32 v12, -0.5, v93
	v_dual_fmac_f32 v14, 0x3f167918, v19 :: v_dual_add_f32 v25, v77, v25
	v_dual_fmac_f32 v22, 0x3e9e377a, v67 :: v_dual_sub_f32 v89, v28, v30
	s_delay_alu instid0(VALU_DEP_3) | instskip(SKIP_1) | instid1(VALU_DEP_4)
	v_fmamk_f32 v82, v87, 0xbf737871, v12
	v_fmamk_f32 v81, v86, 0x3f737871, v76
	v_dual_add_f32 v25, v25, v27 :: v_dual_fmac_f32 v76, 0xbf737871, v86
	v_dual_add_f32 v23, v23, v83 :: v_dual_fmac_f32 v10, 0xbf167918, v69
	v_dual_fmac_f32 v65, 0xbf737871, v69 :: v_dual_sub_f32 v26, v26, v28
	v_fmamk_f32 v27, v19, 0xbf737871, v73
	v_fmac_f32_e32 v80, 0xbf167918, v19
	s_delay_alu instid0(VALU_DEP_4) | instskip(SKIP_4) | instid1(VALU_DEP_2)
	v_fmac_f32_e32 v10, 0x3e9e377a, v72
	v_dual_add_f32 v17, v17, v24 :: v_dual_fmac_f32 v14, 0x3e9e377a, v23
	v_fmac_f32_e32 v82, 0x3f167918, v86
	v_dual_add_f32 v75, v84, v18 :: v_dual_add_f32 v24, v25, v29
	v_dual_sub_f32 v18, v18, v30 :: v_dual_add_f32 v29, v33, v60
	v_dual_fmac_f32 v80, 0x3e9e377a, v23 :: v_dual_add_f32 v75, v75, v30
	v_dual_sub_f32 v23, v30, v28 :: v_dual_fmac_f32 v12, 0x3f737871, v87
	v_fmac_f32_e32 v65, 0xbf167918, v71
	s_delay_alu instid0(VALU_DEP_4)
	v_fma_f32 v29, -0.5, v29, v13
	v_add_f32_e32 v25, v13, v31
	v_dual_add_f32 v77, v88, v89 :: v_dual_fmac_f32 v78, 0x3e9e377a, v72
	v_dual_fmac_f32 v73, 0x3f737871, v19 :: v_dual_sub_f32 v30, v31, v33
	v_dual_add_f32 v19, v75, v28 :: v_dual_fmac_f32 v76, 0xbf167918, v87
	v_fmac_f32_e32 v12, 0xbf167918, v86
	v_fmac_f32_e32 v65, 0x3e9e377a, v67
	v_dual_fmamk_f32 v28, v26, 0xbf737871, v29 :: v_dual_add_f32 v25, v25, v33
	v_add_f32_e32 v67, v31, v62
	v_fmac_f32_e32 v27, 0xbf167918, v79
	v_add_f32_e32 v23, v94, v23
	v_sub_f32_e32 v69, v62, v60
	v_add_f32_e32 v25, v25, v60
	v_fmac_f32_e32 v13, -0.5, v67
	v_fmac_f32_e32 v29, 0x3f737871, v26
	v_sub_f32_e32 v31, v33, v31
	v_dual_sub_f32 v33, v60, v62 :: v_dual_add_f32 v60, v59, v61
	v_fmac_f32_e32 v81, 0x3f167918, v87
	v_fmac_f32_e32 v73, 0x3f167918, v79
	;; [unrolled: 1-line block ×7, first 2 shown]
	v_add_f32_e32 v31, v31, v33
	v_fma_f32 v33, -0.5, v60, v11
	v_dual_sub_f32 v60, v64, v70 :: v_dual_fmac_f32 v81, 0x3e9e377a, v77
	v_sub_f32_e32 v67, v63, v61
	v_dual_add_f32 v23, v25, v62 :: v_dual_sub_f32 v62, v32, v59
	v_add_f32_e32 v25, v30, v69
	v_fmamk_f32 v30, v18, 0x3f737871, v13
	v_dual_fmac_f32 v13, 0xbf737871, v18 :: v_dual_add_f32 v18, v11, v32
	v_add_f32_e32 v69, v32, v63
	s_delay_alu instid0(VALU_DEP_3) | instskip(SKIP_1) | instid1(VALU_DEP_3)
	v_dual_sub_f32 v71, v61, v63 :: v_dual_fmac_f32 v30, 0xbf167918, v26
	v_dual_fmac_f32 v73, 0x3e9e377a, v74 :: v_dual_fmac_f32 v28, 0x3e9e377a, v25
	v_dual_add_f32 v18, v18, v59 :: v_dual_fmac_f32 v11, -0.5, v69
	v_sub_f32_e32 v69, v59, v32
	v_sub_f32_e32 v59, v59, v61
	v_dual_fmac_f32 v13, 0x3f167918, v26 :: v_dual_sub_f32 v26, v66, v68
	v_fmac_f32_e32 v30, 0x3e9e377a, v31
	v_add_f32_e32 v18, v18, v61
	v_sub_f32_e32 v32, v32, v63
	s_delay_alu instid0(VALU_DEP_4)
	v_fmac_f32_e32 v13, 0x3e9e377a, v31
	v_fmamk_f32 v31, v26, 0xbf737871, v11
	v_fmac_f32_e32 v11, 0x3f737871, v26
	v_fmac_f32_e32 v29, 0x3e9e377a, v25
	v_fmamk_f32 v25, v60, 0x3f737871, v33
	v_dual_fmac_f32 v33, 0xbf737871, v60 :: v_dual_add_f32 v18, v18, v63
	v_fmac_f32_e32 v31, 0x3f167918, v60
	v_add_f32_e32 v63, v69, v71
	v_fmac_f32_e32 v11, 0xbf167918, v60
	v_dual_fmac_f32 v25, 0x3f167918, v26 :: v_dual_add_f32 v62, v62, v67
	v_fmac_f32_e32 v33, 0xbf167918, v26
	s_delay_alu instid0(VALU_DEP_4) | instskip(NEXT) | instid1(VALU_DEP_4)
	v_fmac_f32_e32 v31, 0x3e9e377a, v63
	v_fmac_f32_e32 v11, 0x3e9e377a, v63
	v_sub_f32_e32 v61, v64, v66
	v_sub_f32_e32 v63, v70, v68
	v_fmac_f32_e32 v33, 0x3e9e377a, v62
	v_add_f32_e32 v67, v66, v68
	v_add3_u32 v15, 0, v15, v3
	v_mul_u32_u24_e32 v3, 0x64, v90
	v_add_f32_e32 v61, v61, v63
	v_dual_fmac_f32 v25, 0x3e9e377a, v62 :: v_dual_add_f32 v62, v5, v64
	v_add3_u32 v16, 0, v16, v91
	v_fmac_f32_e32 v76, 0x3e9e377a, v77
	ds_store_2addr_b32 v15, v17, v22 offset1:5
	ds_store_2addr_b32 v15, v78, v10 offset0:10 offset1:15
	v_add3_u32 v17, 0, v3, v92
	v_add_f32_e32 v26, v62, v66
	v_fma_f32 v62, -0.5, v67, v5
	v_dual_add_f32 v67, v64, v70 :: v_dual_sub_f32 v64, v66, v64
	v_sub_f32_e32 v66, v68, v70
	s_delay_alu instid0(VALU_DEP_4) | instskip(NEXT) | instid1(VALU_DEP_4)
	v_add_f32_e32 v26, v26, v68
	v_fmamk_f32 v60, v32, 0xbf737871, v62
	s_delay_alu instid0(VALU_DEP_4) | instskip(SKIP_1) | instid1(VALU_DEP_4)
	v_dual_fmac_f32 v62, 0x3f737871, v32 :: v_dual_fmac_f32 v5, -0.5, v67
	v_mul_lo_u16 v9, v9, 41
	v_add_f32_e32 v26, v26, v70
	s_delay_alu instid0(VALU_DEP_4) | instskip(NEXT) | instid1(VALU_DEP_4)
	v_fmac_f32_e32 v60, 0xbf167918, v59
	v_fmac_f32_e32 v62, 0x3f167918, v59
	v_fmamk_f32 v74, v59, 0x3f737871, v5
	v_fmac_f32_e32 v5, 0xbf737871, v59
	s_delay_alu instid0(VALU_DEP_4) | instskip(NEXT) | instid1(VALU_DEP_4)
	v_dual_add_f32 v59, v64, v66 :: v_dual_fmac_f32 v60, 0x3e9e377a, v61
	v_fmac_f32_e32 v62, 0x3e9e377a, v61
	ds_store_b32 v15, v65 offset:80
	ds_store_2addr_b32 v16, v19, v81 offset1:5
	ds_store_2addr_b32 v16, v82, v12 offset0:10 offset1:15
	ds_store_b32 v16, v76 offset:80
	ds_store_2addr_b32 v17, v18, v25 offset1:5
	ds_store_2addr_b32 v17, v31, v11 offset0:10 offset1:15
	ds_store_b32 v17, v33 offset:80
	v_mul_u32_u24_e32 v12, 0x47af, v0
	v_mul_u32_u24_e32 v18, 0x47af, v1
	global_wb scope:SCOPE_SE
	s_wait_dscnt 0x0
	s_barrier_signal -1
	s_barrier_wait -1
	v_lshrrev_b32_e32 v12, 16, v12
	v_lshrrev_b32_e32 v18, 16, v18
	global_inv scope:SCOPE_SE
	ds_load_b32 v3, v53
	ds_load_2addr_b32 v[63:64], v2 offset0:6 offset1:231
	ds_load_2addr_b32 v[65:66], v4 offset0:8 offset1:233
	;; [unrolled: 1-line block ×5, first 2 shown]
	ds_load_b32 v10, v57
	ds_load_b32 v11, v58
	;; [unrolled: 1-line block ×3, first 2 shown]
	ds_load_b32 v81, v53 offset:12600
	v_sub_nc_u16 v19, v47, v12
	global_wb scope:SCOPE_SE
	s_wait_dscnt 0x0
	s_barrier_signal -1
	s_barrier_wait -1
	global_inv scope:SCOPE_SE
	v_lshrrev_b16 v19, 1, v19
	ds_store_2addr_b32 v15, v80, v14 offset0:10 offset1:15
	v_lshrrev_b16 v80, 10, v9
	v_sub_nc_u16 v9, v48, v18
	v_fmac_f32_e32 v74, 0xbf167918, v32
	v_add_nc_u16 v12, v19, v12
	v_fmac_f32_e32 v5, 0x3f167918, v32
	ds_store_2addr_b32 v15, v24, v27 offset1:5
	v_lshrrev_b16 v9, 1, v9
	v_fmac_f32_e32 v74, 0x3e9e377a, v59
	v_lshrrev_b16 v82, 4, v12
	v_fmac_f32_e32 v5, 0x3e9e377a, v59
	ds_store_b32 v15, v73 offset:80
	v_add_nc_u16 v9, v9, v18
	ds_store_2addr_b32 v16, v30, v13 offset0:10 offset1:15
	v_mul_lo_u16 v13, v82, 25
	v_mul_lo_u16 v14, v80, 25
	ds_store_2addr_b32 v16, v23, v28 offset1:5
	v_lshrrev_b16 v84, 4, v9
	ds_store_b32 v16, v29 offset:80
	ds_store_2addr_b32 v17, v74, v5 offset0:10 offset1:15
	v_sub_nc_u16 v5, v47, v13
	v_sub_nc_u16 v12, v36, v14
	v_mul_lo_u16 v16, v84, 25
	ds_store_2addr_b32 v17, v26, v60 offset1:5
	ds_store_b32 v17, v62 offset:80
	v_and_b32_e32 v85, 0xffff, v5
	v_and_b32_e32 v83, 0xff, v12
	v_sub_nc_u16 v5, v48, v16
	global_wb scope:SCOPE_SE
	s_wait_dscnt 0x0
	s_barrier_signal -1
	v_lshlrev_b32_e32 v26, 5, v85
	v_lshlrev_b32_e32 v9, 5, v83
	v_and_b32_e32 v86, 0xffff, v5
	s_barrier_wait -1
	global_inv scope:SCOPE_SE
	s_clause 0x2
	global_load_b128 v[22:25], v26, s[4:5] offset:160
	global_load_b128 v[12:15], v9, s[4:5] offset:160
	;; [unrolled: 1-line block ×3, first 2 shown]
	v_lshlrev_b32_e32 v5, 5, v86
	s_clause 0x2
	global_load_b128 v[26:29], v26, s[4:5] offset:176
	global_load_b128 v[30:33], v5, s[4:5] offset:160
	;; [unrolled: 1-line block ×3, first 2 shown]
	ds_load_b32 v87, v54
	ds_load_2addr_b32 v[73:74], v2 offset0:6 offset1:231
	ds_load_2addr_b32 v[75:76], v4 offset0:8 offset1:233
	;; [unrolled: 1-line block ×5, first 2 shown]
	v_mul_u32_u24_e32 v0, 0x625, v0
	v_mul_u32_u24_e32 v1, 0x625, v1
	s_delay_alu instid0(VALU_DEP_2) | instskip(NEXT) | instid1(VALU_DEP_2)
	v_lshrrev_b32_e32 v0, 16, v0
	v_lshrrev_b32_e32 v1, 16, v1
	s_wait_loadcnt_dscnt 0x504
	v_mul_f32_e32 v94, v74, v25
	s_wait_loadcnt 0x4
	v_mul_f32_e32 v90, v73, v15
	s_wait_loadcnt_dscnt 0x302
	v_mul_f32_e32 v92, v5, v19
	s_wait_loadcnt 0x2
	v_dual_mul_f32 v19, v67, v19 :: v_dual_mul_f32 v96, v6, v29
	s_wait_loadcnt 0x1
	v_mul_f32_e32 v98, v75, v33
	v_mul_f32_e32 v33, v65, v33
	s_wait_loadcnt_dscnt 0x0
	v_mul_f32_e32 v99, v78, v60
	v_dual_mul_f32 v60, v72, v60 :: v_dual_mul_f32 v97, v9, v31
	v_mul_f32_e32 v31, v70, v31
	v_fmac_f32_e32 v33, v75, v32
	s_delay_alu instid0(VALU_DEP_3)
	v_dual_fmac_f32 v19, v5, v18 :: v_dual_fmac_f32 v60, v78, v59
	v_mul_f32_e32 v89, v87, v13
	v_mul_f32_e32 v13, v79, v13
	v_fmac_f32_e32 v31, v9, v30
	v_fma_f32 v9, v65, v32, -v98
	v_mul_f32_e32 v29, v68, v29
	v_fma_f32 v5, v64, v24, -v94
	v_fmac_f32_e32 v13, v87, v12
	s_delay_alu instid0(VALU_DEP_1) | instskip(SKIP_2) | instid1(VALU_DEP_3)
	v_dual_sub_f32 v32, v13, v19 :: v_dual_mul_f32 v25, v64, v25
	v_mul_f32_e32 v95, v77, v27
	v_mul_f32_e32 v27, v71, v27
	v_fmac_f32_e32 v25, v74, v24
	v_fma_f32 v24, v72, v59, -v99
	s_delay_alu instid0(VALU_DEP_3) | instskip(NEXT) | instid1(VALU_DEP_2)
	v_fmac_f32_e32 v27, v77, v26
	v_add_f32_e32 v98, v9, v24
	s_delay_alu instid0(VALU_DEP_2) | instskip(SKIP_1) | instid1(VALU_DEP_1)
	v_dual_sub_f32 v78, v25, v27 :: v_dual_fmac_f32 v29, v6, v28
	v_fma_f32 v6, v70, v30, -v97
	v_add_f32_e32 v97, v10, v6
	v_mul_f32_e32 v93, v8, v23
	v_mul_f32_e32 v23, v69, v23
	s_delay_alu instid0(VALU_DEP_1)
	v_fmac_f32_e32 v23, v8, v22
	v_fma_f32 v8, v71, v26, -v95
	v_lshlrev_b32_e32 v7, 2, v83
	v_lshlrev_b32_e32 v83, 2, v85
	;; [unrolled: 1-line block ×3, first 2 shown]
	ds_load_b32 v86, v53
	ds_load_b32 v4, v58
	;; [unrolled: 1-line block ×3, first 2 shown]
	ds_load_b32 v88, v53 offset:12600
	v_mul_f32_e32 v15, v63, v15
	global_wb scope:SCOPE_SE
	s_wait_dscnt 0x0
	s_barrier_signal -1
	s_barrier_wait -1
	global_inv scope:SCOPE_SE
	v_fmac_f32_e32 v15, v73, v14
	v_mul_f32_e32 v100, v88, v62
	v_mul_f32_e32 v62, v81, v62
	s_delay_alu instid0(VALU_DEP_2)
	v_fma_f32 v26, v81, v61, -v100
	v_sub_f32_e32 v100, v33, v60
	v_fma_f32 v79, v79, v12, -v89
	v_fma_f32 v12, v63, v14, -v90
	v_fmac_f32_e32 v62, v88, v61
	v_add_f32_e32 v95, v23, v29
	v_dual_sub_f32 v77, v23, v29 :: v_dual_add_f32 v90, v4, v23
	s_delay_alu instid0(VALU_DEP_4) | instskip(SKIP_3) | instid1(VALU_DEP_3)
	v_sub_f32_e32 v61, v79, v12
	v_mul_f32_e32 v91, v76, v17
	v_mul_f32_e32 v17, v66, v17
	v_sub_f32_e32 v65, v12, v79
	v_fma_f32 v14, v66, v16, -v91
	s_delay_alu instid0(VALU_DEP_3)
	v_fmac_f32_e32 v17, v76, v16
	v_fma_f32 v16, v67, v18, -v92
	v_fma_f32 v18, v69, v22, -v93
	;; [unrolled: 1-line block ×3, first 2 shown]
	v_add_f32_e32 v28, v3, v79
	v_add_f32_e32 v30, v12, v14
	;; [unrolled: 1-line block ×3, first 2 shown]
	v_dual_add_f32 v75, v11, v18 :: v_dual_add_f32 v76, v5, v8
	v_dual_sub_f32 v69, v79, v16 :: v_dual_sub_f32 v70, v12, v14
	v_dual_sub_f32 v79, v18, v5 :: v_dual_sub_f32 v88, v5, v18
	v_sub_f32_e32 v92, v5, v8
	v_add_f32_e32 v12, v28, v12
	v_fma_f32 v30, -0.5, v30, v3
	v_fmac_f32_e32 v3, -0.5, v64
	v_add_f32_e32 v5, v75, v5
	v_fma_f32 v64, -0.5, v76, v11
	v_dual_sub_f32 v63, v16, v14 :: v_dual_sub_f32 v66, v14, v16
	v_sub_f32_e32 v81, v22, v8
	v_add_f32_e32 v87, v18, v22
	v_sub_f32_e32 v89, v8, v22
	v_dual_sub_f32 v18, v18, v22 :: v_dual_sub_f32 v59, v15, v17
	v_add_f32_e32 v12, v12, v14
	v_fmamk_f32 v14, v32, 0x3f737871, v30
	v_fmac_f32_e32 v30, 0xbf737871, v32
	v_add_f32_e32 v5, v5, v8
	v_fmamk_f32 v8, v77, 0x3f737871, v64
	v_dual_fmac_f32 v64, 0xbf737871, v77 :: v_dual_add_f32 v91, v25, v27
	v_add_f32_e32 v28, v61, v63
	v_add_f32_e32 v61, v65, v66
	v_dual_add_f32 v65, v79, v81 :: v_dual_add_f32 v12, v12, v16
	v_sub_f32_e32 v72, v19, v17
	v_fmac_f32_e32 v30, 0xbf167918, v59
	v_dual_fmac_f32 v64, 0xbf167918, v78 :: v_dual_sub_f32 v71, v13, v15
	v_add_f32_e32 v73, v13, v19
	v_sub_f32_e32 v74, v17, v19
	v_fmac_f32_e32 v8, 0x3f167918, v78
	s_delay_alu instid0(VALU_DEP_4) | instskip(SKIP_4) | instid1(VALU_DEP_4)
	v_dual_fmac_f32 v64, 0x3e9e377a, v65 :: v_dual_add_f32 v63, v71, v72
	v_fma_f32 v71, -0.5, v91, v4
	v_fmac_f32_e32 v4, -0.5, v95
	v_fma_f32 v72, -0.5, v98, v10
	v_dual_fmac_f32 v8, 0x3e9e377a, v65 :: v_dual_add_f32 v5, v5, v22
	v_fmamk_f32 v76, v18, 0xbf737871, v71
	s_delay_alu instid0(VALU_DEP_4) | instskip(SKIP_2) | instid1(VALU_DEP_3)
	v_fmamk_f32 v79, v92, 0x3f737871, v4
	v_fmac_f32_e32 v4, 0xbf737871, v92
	v_dual_add_f32 v68, v15, v17 :: v_dual_fmac_f32 v71, 0x3f737871, v18
	v_dual_fmac_f32 v76, 0xbf167918, v92 :: v_dual_fmac_f32 v79, 0xbf167918, v18
	s_delay_alu instid0(VALU_DEP_3) | instskip(SKIP_1) | instid1(VALU_DEP_4)
	v_fmac_f32_e32 v4, 0x3f167918, v18
	v_fmac_f32_e32 v14, 0x3f167918, v59
	v_fma_f32 v101, -0.5, v68, v86
	v_sub_f32_e32 v18, v26, v24
	v_add_f32_e32 v68, v97, v9
	v_sub_f32_e32 v96, v27, v29
	v_dual_fmac_f32 v14, 0x3e9e377a, v28 :: v_dual_sub_f32 v99, v31, v62
	v_add_f32_e32 v67, v86, v13
	v_sub_f32_e32 v13, v15, v13
	v_fmac_f32_e32 v86, -0.5, v73
	v_add_f32_e32 v22, v68, v24
	v_sub_f32_e32 v94, v29, v27
	s_delay_alu instid0(VALU_DEP_4) | instskip(NEXT) | instid1(VALU_DEP_4)
	v_dual_fmac_f32 v30, 0x3e9e377a, v28 :: v_dual_add_f32 v13, v13, v74
	v_fmamk_f32 v74, v70, 0x3f737871, v86
	v_fmac_f32_e32 v86, 0xbf737871, v70
	v_fmac_f32_e32 v71, 0x3f167918, v92
	s_delay_alu instid0(VALU_DEP_3) | instskip(NEXT) | instid1(VALU_DEP_3)
	v_fmac_f32_e32 v74, 0xbf167918, v69
	v_fmac_f32_e32 v86, 0x3f167918, v69
	v_sub_f32_e32 v93, v23, v25
	s_delay_alu instid0(VALU_DEP_3) | instskip(NEXT) | instid1(VALU_DEP_3)
	v_fmac_f32_e32 v74, 0x3e9e377a, v13
	v_fmac_f32_e32 v86, 0x3e9e377a, v13
	v_sub_f32_e32 v13, v6, v9
	s_delay_alu instid0(VALU_DEP_1) | instskip(SKIP_3) | instid1(VALU_DEP_2)
	v_add_f32_e32 v13, v13, v18
	v_add_f32_e32 v18, v22, v26
	;; [unrolled: 1-line block ×4, first 2 shown]
	v_fma_f32 v22, -0.5, v22, v2
	v_sub_f32_e32 v23, v25, v23
	v_add_f32_e32 v25, v90, v25
	s_delay_alu instid0(VALU_DEP_2) | instskip(NEXT) | instid1(VALU_DEP_2)
	v_add_f32_e32 v23, v23, v96
	v_add_f32_e32 v25, v25, v27
	v_fmamk_f32 v27, v99, 0x3f737871, v72
	v_fmac_f32_e32 v72, 0xbf737871, v99
	v_add_f32_e32 v15, v67, v15
	s_delay_alu instid0(VALU_DEP_4)
	v_dual_fmac_f32 v79, 0x3e9e377a, v23 :: v_dual_add_f32 v16, v25, v29
	v_dual_fmac_f32 v4, 0x3e9e377a, v23 :: v_dual_sub_f32 v23, v9, v6
	v_sub_f32_e32 v25, v24, v26
	v_sub_f32_e32 v9, v9, v24
	v_dual_sub_f32 v24, v62, v60 :: v_dual_add_f32 v15, v15, v17
	v_fmac_f32_e32 v27, 0x3f167918, v100
	v_fmac_f32_e32 v72, 0xbf167918, v100
	v_fmamk_f32 v17, v69, 0xbf737871, v101
	v_fmac_f32_e32 v101, 0x3f737871, v69
	v_add_f32_e32 v15, v15, v19
	v_add_f32_e32 v19, v6, v26
	v_dual_sub_f32 v6, v6, v26 :: v_dual_fmac_f32 v27, 0x3e9e377a, v13
	v_fmac_f32_e32 v72, 0x3e9e377a, v13
	s_delay_alu instid0(VALU_DEP_3) | instskip(SKIP_1) | instid1(VALU_DEP_4)
	v_dual_fmac_f32 v17, 0xbf167918, v70 :: v_dual_fmac_f32 v10, -0.5, v19
	v_fmac_f32_e32 v101, 0x3f167918, v70
	v_dual_add_f32 v23, v23, v25 :: v_dual_fmamk_f32 v70, v6, 0xbf737871, v22
	v_add_f32_e32 v25, v31, v62
	s_delay_alu instid0(VALU_DEP_4) | instskip(SKIP_2) | instid1(VALU_DEP_4)
	v_fmamk_f32 v13, v100, 0xbf737871, v10
	v_fmac_f32_e32 v10, 0x3f737871, v100
	v_dual_fmac_f32 v22, 0x3f737871, v6 :: v_dual_fmac_f32 v11, -0.5, v87
	v_dual_add_f32 v19, v2, v31 :: v_dual_fmac_f32 v2, -0.5, v25
	s_delay_alu instid0(VALU_DEP_3) | instskip(NEXT) | instid1(VALU_DEP_3)
	v_fmac_f32_e32 v10, 0xbf167918, v99
	v_fmac_f32_e32 v22, 0x3f167918, v9
	s_delay_alu instid0(VALU_DEP_4)
	v_fmamk_f32 v75, v78, 0xbf737871, v11
	v_fmac_f32_e32 v11, 0x3f737871, v78
	v_sub_f32_e32 v25, v33, v31
	v_fmac_f32_e32 v10, 0x3e9e377a, v23
	v_fmac_f32_e32 v13, 0x3f167918, v99
	;; [unrolled: 1-line block ×4, first 2 shown]
	v_dual_fmamk_f32 v77, v9, 0x3f737871, v2 :: v_dual_sub_f32 v26, v60, v62
	v_fmac_f32_e32 v2, 0xbf737871, v9
	v_fmac_f32_e32 v13, 0x3e9e377a, v23
	v_sub_f32_e32 v23, v31, v33
	s_delay_alu instid0(VALU_DEP_4)
	v_dual_fmac_f32 v70, 0xbf167918, v9 :: v_dual_fmac_f32 v77, 0xbf167918, v6
	v_add_f32_e32 v9, v25, v26
	v_fmac_f32_e32 v2, 0x3f167918, v6
	v_dual_add_f32 v67, v93, v94 :: v_dual_and_b32 v6, 0xffff, v80
	v_add_f32_e32 v23, v23, v24
	v_fmamk_f32 v73, v59, 0xbf737871, v3
	v_fmac_f32_e32 v3, 0x3f737871, v59
	v_fmac_f32_e32 v77, 0x3e9e377a, v9
	;; [unrolled: 1-line block ×3, first 2 shown]
	v_and_b32_e32 v9, 0xffff, v82
	v_dual_add_f32 v19, v19, v33 :: v_dual_fmac_f32 v70, 0x3e9e377a, v23
	v_fmac_f32_e32 v22, 0x3e9e377a, v23
	v_mul_u32_u24_e32 v6, 0x1f4, v6
	v_and_b32_e32 v23, 0xffff, v84
	v_fmac_f32_e32 v73, 0x3f167918, v32
	v_fmac_f32_e32 v3, 0xbf167918, v32
	v_mul_u32_u24_e32 v9, 0x1f4, v9
	v_add_f32_e32 v19, v19, v60
	v_add3_u32 v6, 0, v6, v7
	v_mul_u32_u24_e32 v7, 0x1f4, v23
	v_fmac_f32_e32 v73, 0x3e9e377a, v61
	v_fmac_f32_e32 v3, 0x3e9e377a, v61
	v_add3_u32 v9, 0, v9, v83
	v_fmac_f32_e32 v75, 0x3e9e377a, v66
	v_fmac_f32_e32 v11, 0x3e9e377a, v66
	;; [unrolled: 1-line block ×3, first 2 shown]
	v_add_f32_e32 v19, v19, v62
	v_add_nc_u32_e32 v59, 0x1180, v53
	v_add_nc_u32_e32 v62, 0x1880, v53
	ds_store_2addr_b32 v6, v12, v14 offset1:25
	ds_store_2addr_b32 v6, v73, v3 offset0:50 offset1:75
	v_add3_u32 v3, 0, v7, v85
	v_add_nc_u32_e32 v60, 0x1f80, v53
	v_fmac_f32_e32 v101, 0x3e9e377a, v63
	ds_store_b32 v6, v30 offset:400
	ds_store_2addr_b32 v9, v5, v8 offset1:25
	ds_store_2addr_b32 v9, v75, v11 offset0:50 offset1:75
	ds_store_b32 v9, v64 offset:400
	ds_store_2addr_b32 v3, v18, v27 offset1:25
	ds_store_2addr_b32 v3, v13, v10 offset0:50 offset1:75
	ds_store_b32 v3, v72 offset:400
	v_add_nc_u32_e32 v61, 0x2680, v53
	v_add_nc_u32_e32 v64, 0x2d80, v53
	v_fmac_f32_e32 v76, 0x3e9e377a, v67
	v_fmac_f32_e32 v71, 0x3e9e377a, v67
	global_wb scope:SCOPE_SE
	s_wait_dscnt 0x0
	s_barrier_signal -1
	s_barrier_wait -1
	global_inv scope:SCOPE_SE
	ds_load_2addr_b32 v[32:33], v59 offset0:5 offset1:230
	ds_load_2addr_b32 v[24:25], v60 offset0:9 offset1:234
	;; [unrolled: 1-line block ×4, first 2 shown]
	v_lshl_add_u32 v63, v50, 2, 0
	ds_load_b32 v68, v53
	ds_load_b32 v65, v54
	ds_load_2addr_b32 v[28:29], v64 offset0:13 offset1:238
	ds_load_b32 v67, v57
	ds_load_b32 v69, v58
	;; [unrolled: 1-line block ×3, first 2 shown]
	global_wb scope:SCOPE_SE
	s_wait_dscnt 0x0
	s_barrier_signal -1
	s_barrier_wait -1
	global_inv scope:SCOPE_SE
	ds_store_2addr_b32 v6, v15, v17 offset1:25
	ds_store_2addr_b32 v6, v74, v86 offset0:50 offset1:75
	ds_store_b32 v6, v101 offset:400
	ds_store_2addr_b32 v9, v16, v76 offset1:25
	ds_store_2addr_b32 v9, v79, v4 offset0:50 offset1:75
	ds_store_b32 v9, v71 offset:400
	v_and_b32_e32 v74, 0xffff, v49
	ds_store_2addr_b32 v3, v19, v70 offset1:25
	ds_store_2addr_b32 v3, v77, v2 offset0:50 offset1:75
	ds_store_b32 v3, v22 offset:400
	v_sub_nc_u16 v2, v47, v0
	v_and_b32_e32 v70, 0xffff, v50
	v_sub_nc_u16 v4, v48, v1
	v_mul_u32_u24_e32 v3, 0x625, v74
	v_add_nc_u32_e32 v6, 0xffffff83, v36
	v_lshrrev_b16 v2, 1, v2
	v_mul_u32_u24_e32 v5, 0x625, v70
	v_mov_b32_e32 v23, 0
	v_lshrrev_b32_e32 v3, 16, v3
	s_wait_alu 0xf1ff
	v_cndmask_b32_e64 v72, v6, v36, s0
	v_add_nc_u16 v0, v2, v0
	v_lshrrev_b16 v2, 1, v4
	v_lshrrev_b32_e32 v5, 16, v5
	v_sub_nc_u16 v4, v49, v3
	v_lshlrev_b32_e32 v22, 1, v72
	v_lshrrev_b16 v71, 6, v0
	v_add_nc_u16 v1, v2, v1
	v_sub_nc_u16 v2, v50, v5
	v_lshrrev_b16 v0, 1, v4
	global_wb scope:SCOPE_SE
	s_wait_dscnt 0x0
	v_mul_lo_u16 v4, 0x7d, v71
	v_lshrrev_b16 v73, 6, v1
	v_lshrrev_b16 v1, 1, v2
	v_add_nc_u16 v0, v0, v3
	s_barrier_signal -1
	v_sub_nc_u16 v2, v47, v4
	v_mul_lo_u16 v3, 0x7d, v73
	v_add_nc_u16 v4, v1, v5
	v_lshrrev_b16 v75, 6, v0
	v_lshlrev_b64_e32 v[0:1], 3, v[22:23]
	v_and_b32_e32 v22, 0xffff, v2
	v_sub_nc_u16 v3, v48, v3
	v_lshrrev_b16 v76, 6, v4
	v_mul_lo_u16 v2, 0x7d, v75
	s_barrier_wait -1
	v_lshlrev_b32_e32 v6, 4, v22
	v_and_b32_e32 v77, 0xffff, v3
	v_mul_lo_u16 v4, 0x7d, v76
	v_sub_nc_u16 v5, v49, v2
	v_add_co_u32 v0, s0, s4, v0
	s_wait_alu 0xf1ff
	v_add_co_ci_u32_e64 v1, s0, s5, v1, s0
	v_sub_nc_u16 v4, v50, v4
	v_and_b32_e32 v78, 0xffff, v5
	v_lshlrev_b32_e32 v5, 4, v77
	global_inv scope:SCOPE_SE
	global_load_b128 v[8:11], v6, s[4:5] offset:960
	v_and_b32_e32 v79, 0xffff, v4
	v_lshlrev_b32_e32 v4, 4, v78
	s_clause 0x1
	global_load_b128 v[16:19], v5, s[4:5] offset:960
	global_load_b128 v[0:3], v[0:1], off offset:960
	v_mul_u32_u24_e32 v74, 0x5d87, v74
	v_lshlrev_b32_e32 v5, 4, v79
	s_clause 0x1
	global_load_b128 v[12:15], v4, s[4:5] offset:960
	global_load_b128 v[4:7], v5, s[4:5] offset:960
	v_cmp_lt_u32_e64 s0, 0x7c, v36
	v_mul_u32_u24_e32 v81, 0x5d87, v70
	v_lshlrev_b32_e32 v70, 2, v72
	v_lshrrev_b32_e32 v82, 16, v74
	v_and_b32_e32 v71, 0xffff, v71
	v_and_b32_e32 v72, 0xffff, v73
	;; [unrolled: 1-line block ×4, first 2 shown]
	s_wait_alu 0xf1ff
	v_cndmask_b32_e64 v80, 0, 0x5dc, s0
	v_mul_u32_u24_e32 v75, 0x5dc, v71
	v_mul_u32_u24_e32 v76, 0x5dc, v72
	v_mul_u32_u24_e32 v83, 0x5dc, v73
	v_mul_u32_u24_e32 v84, 0x5dc, v74
	v_lshlrev_b32_e32 v22, 2, v22
	v_lshlrev_b32_e32 v74, 2, v77
	;; [unrolled: 1-line block ×4, first 2 shown]
	ds_load_2addr_b32 v[72:73], v60 offset0:9 offset1:234
	v_add3_u32 v80, 0, v80, v70
	ds_load_2addr_b32 v[70:71], v59 offset0:5 offset1:230
	v_add3_u32 v22, 0, v75, v22
	v_add3_u32 v85, 0, v76, v74
	ds_load_2addr_b32 v[74:75], v61 offset0:11 offset1:236
	v_add3_u32 v83, 0, v83, v77
	ds_load_2addr_b32 v[76:77], v62 offset0:7 offset1:232
	v_add3_u32 v84, 0, v84, v78
	ds_load_b32 v86, v53
	ds_load_b32 v87, v54
	ds_load_2addr_b32 v[78:79], v64 offset0:13 offset1:238
	ds_load_b32 v88, v57
	ds_load_b32 v89, v58
	;; [unrolled: 1-line block ×3, first 2 shown]
	global_wb scope:SCOPE_SE
	s_wait_loadcnt_dscnt 0x0
	s_barrier_signal -1
	s_barrier_wait -1
	global_inv scope:SCOPE_SE
	v_cmp_gt_u32_e64 s0, 0x96, v36
	v_mul_f32_e32 v93, v71, v9
	v_dual_mul_f32 v9, v33, v9 :: v_dual_mul_f32 v94, v74, v11
	v_mul_f32_e32 v11, v26, v11
	v_mul_f32_e32 v92, v73, v3
	;; [unrolled: 1-line block ×3, first 2 shown]
	v_dual_mul_f32 v95, v76, v17 :: v_dual_mul_f32 v96, v75, v19
	v_mul_f32_e32 v17, v30, v17
	v_dual_mul_f32 v98, v78, v15 :: v_dual_mul_f32 v99, v72, v5
	v_dual_mul_f32 v5, v24, v5 :: v_dual_mul_f32 v100, v79, v7
	v_mul_f32_e32 v7, v29, v7
	v_mul_f32_e32 v15, v28, v15
	;; [unrolled: 1-line block ×3, first 2 shown]
	s_delay_alu instid0(VALU_DEP_4)
	v_fmac_f32_e32 v5, v72, v4
	v_mul_f32_e32 v97, v77, v13
	v_fmac_f32_e32 v7, v79, v6
	v_fmac_f32_e32 v15, v78, v14
	v_mul_f32_e32 v13, v31, v13
	v_add_f32_e32 v79, v90, v5
	v_fmac_f32_e32 v3, v73, v2
	v_sub_f32_e32 v78, v5, v7
	v_add_f32_e32 v5, v5, v7
	v_mul_f32_e32 v91, v70, v1
	v_fmac_f32_e32 v9, v71, v8
	v_fmac_f32_e32 v11, v74, v10
	s_delay_alu instid0(VALU_DEP_4)
	v_dual_fmac_f32 v17, v76, v16 :: v_dual_fmac_f32 v90, -0.5, v5
	v_mul_f32_e32 v1, v32, v1
	v_fma_f32 v32, v32, v0, -v91
	v_fmac_f32_e32 v19, v75, v18
	v_fmac_f32_e32 v13, v77, v12
	v_add_f32_e32 v71, v88, v17
	v_fmac_f32_e32 v1, v70, v0
	v_fma_f32 v0, v25, v2, -v92
	v_fma_f32 v2, v33, v8, -v93
	;; [unrolled: 1-line block ×9, first 2 shown]
	v_add_f32_e32 v18, v32, v0
	v_dual_add_f32 v29, v2, v8 :: v_dual_sub_f32 v30, v9, v11
	v_add_f32_e32 v31, v89, v9
	v_add_f32_e32 v9, v9, v11
	v_dual_add_f32 v33, v25, v10 :: v_dual_add_f32 v6, v68, v32
	v_sub_f32_e32 v24, v1, v3
	v_dual_add_f32 v26, v86, v1 :: v_dual_add_f32 v1, v1, v3
	v_dual_add_f32 v73, v16, v12 :: v_dual_sub_f32 v74, v13, v15
	v_add_f32_e32 v75, v87, v13
	v_add_f32_e32 v13, v13, v15
	v_dual_add_f32 v77, v14, v4 :: v_dual_fmac_f32 v68, -0.5, v18
	v_dual_add_f32 v28, v69, v2 :: v_dual_fmac_f32 v69, -0.5, v29
	v_sub_f32_e32 v27, v32, v0
	v_sub_f32_e32 v2, v2, v8
	v_add_f32_e32 v32, v67, v25
	v_sub_f32_e32 v70, v17, v19
	v_add_f32_e32 v17, v17, v19
	v_fmac_f32_e32 v89, -0.5, v9
	v_dual_fmac_f32 v67, -0.5, v33 :: v_dual_add_f32 v72, v65, v16
	v_sub_f32_e32 v16, v16, v12
	v_add_f32_e32 v76, v66, v14
	v_add_f32_e32 v0, v6, v0
	v_fmac_f32_e32 v86, -0.5, v1
	v_fmac_f32_e32 v65, -0.5, v73
	;; [unrolled: 1-line block ×4, first 2 shown]
	v_fmamk_f32 v5, v24, 0x3f5db3d7, v68
	v_fmac_f32_e32 v68, 0xbf5db3d7, v24
	v_add_f32_e32 v1, v28, v8
	v_fmamk_f32 v13, v30, 0x3f5db3d7, v69
	v_fmac_f32_e32 v69, 0xbf5db3d7, v30
	v_dual_sub_f32 v25, v25, v10 :: v_dual_add_f32 v6, v31, v11
	v_add_f32_e32 v8, v32, v10
	v_dual_fmac_f32 v88, -0.5, v17 :: v_dual_add_f32 v11, v75, v15
	v_fmamk_f32 v15, v2, 0xbf5db3d7, v89
	v_fmac_f32_e32 v89, 0x3f5db3d7, v2
	v_fmamk_f32 v2, v70, 0x3f5db3d7, v67
	v_sub_f32_e32 v14, v14, v4
	v_add_f32_e32 v3, v26, v3
	v_dual_add_f32 v10, v71, v19 :: v_dual_add_f32 v9, v72, v12
	v_add_f32_e32 v4, v76, v4
	v_dual_fmamk_f32 v12, v27, 0xbf5db3d7, v86 :: v_dual_fmac_f32 v67, 0xbf5db3d7, v70
	v_fmamk_f32 v18, v74, 0x3f5db3d7, v65
	v_fmac_f32_e32 v65, 0xbf5db3d7, v74
	v_fmamk_f32 v19, v16, 0xbf5db3d7, v87
	v_dual_fmac_f32 v87, 0x3f5db3d7, v16 :: v_dual_fmamk_f32 v16, v78, 0x3f5db3d7, v66
	v_fmac_f32_e32 v66, 0xbf5db3d7, v78
	ds_store_2addr_b32 v80, v0, v5 offset1:125
	ds_store_b32 v80, v68 offset:1000
	ds_store_2addr_b32 v22, v1, v13 offset1:125
	ds_store_b32 v22, v69 offset:1000
	;; [unrolled: 2-line block ×5, first 2 shown]
	v_lshrrev_b32_e32 v2, 16, v81
	v_fmac_f32_e32 v86, 0x3f5db3d7, v27
	v_fmamk_f32 v17, v25, 0xbf5db3d7, v88
	v_sub_nc_u16 v0, v49, v82
	v_dual_add_f32 v7, v79, v7 :: v_dual_fmac_f32 v88, 0x3f5db3d7, v25
	v_fmamk_f32 v24, v14, 0xbf5db3d7, v90
	global_wb scope:SCOPE_SE
	s_wait_dscnt 0x0
	s_barrier_signal -1
	s_barrier_wait -1
	global_inv scope:SCOPE_SE
	ds_load_2addr_b32 v[8:9], v59 offset0:5 offset1:230
	ds_load_2addr_b32 v[28:29], v60 offset0:9 offset1:234
	;; [unrolled: 1-line block ×4, first 2 shown]
	ds_load_b32 v77, v53
	ds_load_b32 v78, v54
	ds_load_2addr_b32 v[65:66], v64 offset0:13 offset1:238
	ds_load_b32 v79, v57
	ds_load_b32 v91, v58
	;; [unrolled: 1-line block ×3, first 2 shown]
	global_wb scope:SCOPE_SE
	s_wait_dscnt 0x0
	s_barrier_signal -1
	s_barrier_wait -1
	global_inv scope:SCOPE_SE
	ds_store_2addr_b32 v80, v3, v12 offset1:125
	ds_store_b32 v80, v86 offset:1000
	ds_store_2addr_b32 v22, v6, v15 offset1:125
	ds_store_b32 v22, v89 offset:1000
	;; [unrolled: 2-line block ×4, first 2 shown]
	ds_store_2addr_b32 v84, v7, v24 offset1:125
	v_sub_nc_u16 v3, v50, v2
	v_add_nc_u32_e32 v1, 0xffffff6a, v36
	v_lshrrev_b16 v0, 1, v0
	v_lshlrev_b32_e32 v22, 1, v36
	v_fmac_f32_e32 v90, 0x3f5db3d7, v14
	v_lshrrev_b16 v3, 1, v3
	s_wait_alu 0xf1ff
	v_cndmask_b32_e64 v67, v1, v47, s0
	v_add_nc_u16 v1, v0, v82
	v_lshl_add_u32 v80, v36, 2, 0
	ds_store_b32 v84, v90 offset:1000
	v_add_nc_u16 v4, v3, v2
	v_lshlrev_b32_e32 v0, 1, v67
	v_lshrrev_b16 v68, 8, v1
	v_mov_b32_e32 v1, v23
	v_lshlrev_b64_e32 v[2:3], 3, v[22:23]
	v_lshrrev_b16 v6, 8, v4
	v_add_nc_u32_e32 v22, 0x96, v22
	v_mul_lo_u16 v5, 0x177, v68
	v_lshlrev_b64_e32 v[0:1], 3, v[0:1]
	global_wb scope:SCOPE_SE
	s_wait_dscnt 0x0
	v_mul_lo_u16 v13, 0x177, v6
	v_add_co_u32 v10, s0, s4, v2
	v_sub_nc_u16 v12, v49, v5
	v_lshlrev_b64_e32 v[4:5], 3, v[22:23]
	s_delay_alu instid0(VALU_DEP_4)
	v_sub_nc_u16 v14, v50, v13
	s_wait_alu 0xf1ff
	v_add_co_ci_u32_e64 v11, s0, s5, v3, s0
	v_add_co_u32 v6, s0, s4, v0
	v_and_b32_e32 v22, 0xffff, v12
	v_and_b32_e32 v73, 0xffff, v14
	s_wait_alu 0xf1ff
	v_add_co_ci_u32_e64 v7, s0, s5, v1, s0
	v_add_co_u32 v12, s0, s4, v4
	s_wait_alu 0xf1ff
	v_add_co_ci_u32_e64 v13, s0, s5, v5, s0
	v_lshlrev_b32_e32 v16, 4, v22
	v_lshlrev_b32_e32 v24, 4, v73
	s_barrier_signal -1
	s_barrier_wait -1
	global_inv scope:SCOPE_SE
	s_clause 0x4
	global_load_b128 v[0:3], v[10:11], off offset:2960
	global_load_b128 v[4:7], v[6:7], off offset:2960
	global_load_b128 v[12:15], v[12:13], off offset:2960
	global_load_b128 v[16:19], v16, s[4:5] offset:2960
	global_load_b128 v[24:27], v24, s[4:5] offset:2960
	v_cmp_lt_u32_e64 s0, 0x95, v36
	v_and_b32_e32 v72, 0xffff, v68
	v_lshlrev_b32_e32 v74, 2, v67
	ds_load_2addr_b32 v[67:68], v59 offset0:5 offset1:230
	ds_load_2addr_b32 v[69:70], v60 offset0:9 offset1:234
	s_wait_alu 0xf1ff
	v_cndmask_b32_e64 v71, 0, 0x1194, s0
	v_mul_u32_u24_e32 v75, 0x1194, v72
	v_lshlrev_b32_e32 v22, 2, v22
	v_lshl_add_u32 v82, v73, 2, 0
	s_delay_alu instid0(VALU_DEP_4)
	v_add3_u32 v81, 0, v71, v74
	ds_load_2addr_b32 v[71:72], v61 offset0:11 offset1:236
	ds_load_2addr_b32 v[73:74], v62 offset0:7 offset1:232
	v_add3_u32 v22, 0, v75, v22
	ds_load_b32 v83, v58
	ds_load_b32 v84, v57
	ds_load_2addr_b32 v[75:76], v64 offset0:13 offset1:238
	ds_load_b32 v85, v53
	ds_load_b32 v86, v54
	;; [unrolled: 1-line block ×3, first 2 shown]
	global_wb scope:SCOPE_SE
	s_wait_loadcnt_dscnt 0x0
	s_barrier_signal -1
	s_barrier_wait -1
	global_inv scope:SCOPE_SE
	v_mul_f32_e32 v88, v67, v1
	v_mul_f32_e32 v1, v8, v1
	;; [unrolled: 1-line block ×3, first 2 shown]
	v_dual_mul_f32 v3, v29, v3 :: v_dual_mul_f32 v90, v68, v5
	v_mul_f32_e32 v5, v9, v5
	v_mul_f32_e32 v93, v71, v7
	v_dual_mul_f32 v7, v30, v7 :: v_dual_mul_f32 v94, v73, v13
	v_mul_f32_e32 v13, v32, v13
	v_mul_f32_e32 v95, v72, v15
	v_dual_mul_f32 v15, v31, v15 :: v_dual_mul_f32 v96, v74, v17
	v_mul_f32_e32 v17, v33, v17
	v_mul_f32_e32 v97, v75, v19
	v_mul_f32_e32 v19, v65, v19
	v_dual_mul_f32 v98, v69, v25 :: v_dual_mul_f32 v99, v76, v27
	v_mul_f32_e32 v25, v28, v25
	v_mul_f32_e32 v27, v66, v27
	v_fma_f32 v8, v8, v0, -v88
	v_fmac_f32_e32 v1, v67, v0
	v_fma_f32 v0, v29, v2, -v89
	v_fmac_f32_e32 v3, v70, v2
	;; [unrolled: 2-line block ×8, first 2 shown]
	v_fma_f32 v16, v28, v24, -v98
	v_fma_f32 v18, v66, v26, -v99
	v_fmac_f32_e32 v25, v69, v24
	v_fmac_f32_e32 v27, v76, v26
	v_add_f32_e32 v26, v8, v0
	v_sub_f32_e32 v28, v1, v3
	v_add_f32_e32 v29, v85, v1
	v_add_f32_e32 v1, v1, v3
	v_dual_add_f32 v31, v2, v4 :: v_dual_sub_f32 v32, v5, v7
	v_add_f32_e32 v33, v83, v5
	v_dual_add_f32 v5, v5, v7 :: v_dual_add_f32 v66, v6, v9
	v_dual_sub_f32 v67, v13, v15 :: v_dual_add_f32 v68, v84, v13
	v_dual_add_f32 v13, v13, v15 :: v_dual_add_f32 v70, v12, v14
	v_add_f32_e32 v74, v16, v18
	v_add_f32_e32 v24, v77, v8
	v_dual_sub_f32 v71, v17, v19 :: v_dual_add_f32 v72, v86, v17
	v_add_f32_e32 v17, v17, v19
	v_dual_sub_f32 v75, v25, v27 :: v_dual_add_f32 v76, v87, v25
	v_add_f32_e32 v25, v25, v27
	v_fmac_f32_e32 v77, -0.5, v26
	v_add_f32_e32 v30, v91, v2
	v_sub_f32_e32 v8, v8, v0
	v_dual_sub_f32 v2, v2, v4 :: v_dual_add_f32 v65, v79, v6
	v_sub_f32_e32 v6, v6, v9
	v_add_f32_e32 v69, v78, v12
	v_add_f32_e32 v73, v92, v16
	v_fmac_f32_e32 v85, -0.5, v1
	v_fmac_f32_e32 v91, -0.5, v31
	;; [unrolled: 1-line block ×3, first 2 shown]
	v_dual_fmac_f32 v79, -0.5, v66 :: v_dual_fmac_f32 v84, -0.5, v13
	v_fmac_f32_e32 v78, -0.5, v70
	v_fmac_f32_e32 v92, -0.5, v74
	v_sub_f32_e32 v12, v12, v14
	v_sub_f32_e32 v16, v16, v18
	v_add_f32_e32 v0, v24, v0
	v_fmac_f32_e32 v86, -0.5, v17
	v_dual_fmac_f32 v87, -0.5, v25 :: v_dual_add_f32 v26, v33, v7
	v_fmamk_f32 v7, v28, 0x3f5db3d7, v77
	v_fmac_f32_e32 v77, 0xbf5db3d7, v28
	v_dual_add_f32 v1, v30, v4 :: v_dual_add_f32 v24, v29, v3
	v_add_f32_e32 v3, v65, v9
	v_add_f32_e32 v4, v69, v14
	;; [unrolled: 1-line block ×4, first 2 shown]
	v_fmamk_f32 v18, v8, 0xbf5db3d7, v85
	v_fmac_f32_e32 v85, 0x3f5db3d7, v8
	v_fmamk_f32 v8, v32, 0x3f5db3d7, v91
	v_fmamk_f32 v25, v2, 0xbf5db3d7, v83
	v_fmac_f32_e32 v83, 0x3f5db3d7, v2
	v_fmamk_f32 v2, v67, 0x3f5db3d7, v79
	;; [unrolled: 3-line block ×3, first 2 shown]
	v_fmamk_f32 v9, v75, 0x3f5db3d7, v92
	v_add_f32_e32 v29, v68, v15
	v_fmac_f32_e32 v91, 0xbf5db3d7, v32
	v_fmac_f32_e32 v79, 0xbf5db3d7, v67
	;; [unrolled: 1-line block ×3, first 2 shown]
	v_fmamk_f32 v28, v12, 0xbf5db3d7, v86
	v_fmac_f32_e32 v86, 0x3f5db3d7, v12
	v_fmac_f32_e32 v92, 0xbf5db3d7, v75
	v_fmamk_f32 v30, v16, 0xbf5db3d7, v87
	v_fmac_f32_e32 v87, 0x3f5db3d7, v16
	ds_store_b32 v53, v0
	ds_store_b32 v53, v7 offset:1500
	ds_store_b32 v53, v77 offset:3000
	ds_store_b32 v81, v1
	ds_store_b32 v81, v8 offset:1500
	ds_store_b32 v81, v91 offset:3000
	;; [unrolled: 1-line block ×5, first 2 shown]
	ds_store_b32 v22, v4
	ds_store_b32 v22, v6 offset:1500
	ds_store_b32 v22, v78 offset:3000
	;; [unrolled: 1-line block ×5, first 2 shown]
	global_wb scope:SCOPE_SE
	s_wait_dscnt 0x0
	s_barrier_signal -1
	s_barrier_wait -1
	global_inv scope:SCOPE_SE
	ds_load_2addr_b32 v[0:1], v59 offset0:5 offset1:230
	ds_load_2addr_b32 v[8:9], v60 offset0:9 offset1:234
	;; [unrolled: 1-line block ×4, first 2 shown]
	ds_load_b32 v15, v53
	ds_load_b32 v14, v54
	ds_load_2addr_b32 v[6:7], v64 offset0:13 offset1:238
	ds_load_b32 v13, v57
	ds_load_b32 v12, v58
	;; [unrolled: 1-line block ×3, first 2 shown]
	v_add_f32_e32 v19, v72, v19
	global_wb scope:SCOPE_SE
	s_wait_dscnt 0x0
	s_barrier_signal -1
	s_barrier_wait -1
	global_inv scope:SCOPE_SE
	ds_store_b32 v53, v24
	ds_store_b32 v53, v18 offset:1500
	ds_store_b32 v53, v85 offset:3000
	ds_store_b32 v81, v26
	ds_store_b32 v81, v25 offset:1500
	ds_store_b32 v81, v83 offset:3000
	ds_store_b32 v80, v29 offset:4800
	ds_store_b32 v80, v27 offset:6300
	ds_store_b32 v80, v84 offset:7800
	ds_store_b32 v22, v19
	ds_store_b32 v22, v28 offset:1500
	ds_store_b32 v22, v86 offset:3000
	;; [unrolled: 1-line block ×5, first 2 shown]
	global_wb scope:SCOPE_SE
	s_wait_dscnt 0x0
	s_barrier_signal -1
	s_barrier_wait -1
	global_inv scope:SCOPE_SE
	s_and_saveexec_b32 s0, vcc_lo
	s_cbranch_execz .LBB0_15
; %bb.14:
	v_lshlrev_b32_e32 v22, 1, v50
	v_mad_co_u64_u32 v[57:58], null, s8, v44, 0
	v_sub_nc_u32_e32 v85, 0, v56
	v_sub_nc_u32_e32 v86, 0, v55
	s_delay_alu instid0(VALU_DEP_4)
	v_lshlrev_b64_e32 v[17:18], 3, v[22:23]
	v_lshlrev_b32_e32 v22, 1, v49
	v_mad_co_u64_u32 v[75:76], null, s8, v41, 0
	v_add_nc_u32_e32 v85, v51, v85
	v_mov_b32_e32 v51, v58
	v_add_co_u32 v17, vcc_lo, s4, v17
	v_lshlrev_b64_e32 v[32:33], 3, v[22:23]
	s_wait_alu 0xfffd
	v_add_co_ci_u32_e32 v18, vcc_lo, s5, v18, vcc_lo
	v_lshlrev_b32_e32 v22, 1, v48
	v_mad_co_u64_u32 v[73:74], null, s8, v35, 0
	s_clause 0x1
	global_load_b128 v[24:27], v[17:18], off offset:8960
	global_load_b128 v[28:31], v[10:11], off offset:8960
	v_add_co_u32 v10, vcc_lo, s4, v32
	s_wait_alu 0xfffd
	v_add_co_ci_u32_e32 v11, vcc_lo, s5, v33, vcc_lo
	v_mad_co_u64_u32 v[79:80], null, s8, v34, 0
	v_mul_hi_u32 v87, 0xe90452d5, v37
	global_load_b128 v[65:68], v[10:11], off offset:8960
	v_lshlrev_b64_e32 v[10:11], 3, v[22:23]
	v_lshlrev_b32_e32 v22, 1, v47
	v_mad_co_u64_u32 v[77:78], null, s8, v40, 0
	v_mad_co_u64_u32 v[83:84], null, s8, v39, 0
	s_delay_alu instid0(VALU_DEP_4)
	v_add_co_u32 v10, vcc_lo, s4, v10
	s_wait_alu 0xfffd
	v_add_co_ci_u32_e32 v11, vcc_lo, s5, v11, vcc_lo
	v_mad_co_u64_u32 v[81:82], null, s8, v42, 0
	v_add_nc_u32_e32 v86, v52, v86
	global_load_b128 v[69:72], v[10:11], off offset:8960
	v_lshlrev_b64_e32 v[10:11], 3, v[22:23]
	s_delay_alu instid0(VALU_DEP_1) | instskip(SKIP_1) | instid1(VALU_DEP_2)
	v_add_co_u32 v10, vcc_lo, s4, v10
	s_wait_alu 0xfffd
	v_add_co_ci_u32_e32 v11, vcc_lo, s5, v11, vcc_lo
	v_add_co_u32 v91, vcc_lo, s10, v20
	s_wait_alu 0xfffd
	v_add_co_ci_u32_e32 v92, vcc_lo, s11, v21, vcc_lo
	global_load_b128 v[47:50], v[10:11], off offset:8960
	ds_load_2addr_b32 v[10:11], v60 offset0:9 offset1:234
	ds_load_2addr_b32 v[17:18], v64 offset0:13 offset1:238
	;; [unrolled: 1-line block ×5, first 2 shown]
	ds_load_b32 v88, v63
	ds_load_b32 v89, v54
	;; [unrolled: 1-line block ×3, first 2 shown]
	v_mad_co_u64_u32 v[53:54], null, s8, v36, 0
	v_mad_co_u64_u32 v[59:60], null, s8, v38, 0
	;; [unrolled: 1-line block ×5, first 2 shown]
	s_delay_alu instid0(VALU_DEP_4) | instskip(NEXT) | instid1(VALU_DEP_4)
	v_dual_mov_b32 v21, v54 :: v_dual_mov_b32 v52, v60
	v_mov_b32_e32 v54, v62
	v_mov_b32_e32 v62, v76
	;; [unrolled: 1-line block ×5, first 2 shown]
	v_lshrrev_b32_e32 v80, 10, v87
	v_mov_b32_e32 v64, v78
	v_mov_b32_e32 v78, v84
	ds_load_b32 v93, v86
	ds_load_b32 v94, v85
	s_wait_dscnt 0x7
	v_mad_co_u64_u32 v[84:85], null, s9, v36, v[21:22]
	v_mad_co_u64_u32 v[85:86], null, s9, v44, v[51:52]
	s_wait_dscnt 0x5
	v_mad_co_u64_u32 v[43:44], null, s9, v43, v[54:55]
	v_mov_b32_e32 v76, v82
	v_mad_co_u64_u32 v[44:45], null, s9, v45, v[58:59]
	v_mad_co_u64_u32 v[20:21], null, s9, v46, v[20:21]
	;; [unrolled: 1-line block ×3, first 2 shown]
	v_mad_u32_u24 v46, 0x8ca, v80, v37
	v_mad_co_u64_u32 v[35:36], null, s9, v35, v[60:61]
	v_mad_co_u64_u32 v[36:37], null, s9, v42, v[76:77]
	;; [unrolled: 1-line block ×6, first 2 shown]
	v_dual_mov_b32 v62, v43 :: v_dual_add_nc_u32 v87, 0x465, v46
	v_dual_mov_b32 v74, v35 :: v_dual_add_nc_u32 v95, 0x8ca, v46
	s_delay_alu instid0(VALU_DEP_4) | instskip(NEXT) | instid1(VALU_DEP_3)
	v_mov_b32_e32 v21, v39
	v_mad_co_u64_u32 v[34:35], null, s8, v87, 0
	v_mov_b32_e32 v60, v51
	v_lshlrev_b64_e32 v[51:52], 3, v[61:62]
	v_mov_b32_e32 v54, v84
	v_mov_b32_e32 v84, v37
	v_mov_b32_e32 v58, v85
	v_lshlrev_b64_e32 v[19:20], 3, v[19:20]
	s_wait_loadcnt 0x2
	v_mad_co_u64_u32 v[40:41], null, s9, v40, v[64:65]
	s_delay_alu instid0(VALU_DEP_1) | instskip(NEXT) | instid1(VALU_DEP_1)
	v_mov_b32_e32 v78, v40
	v_lshlrev_b64_e32 v[61:62], 3, v[77:78]
	v_mad_co_u64_u32 v[77:78], null, s9, v46, v[21:22]
	v_dual_mul_f32 v46, v18, v27 :: v_dual_mov_b32 v21, v35
	v_dual_mul_f32 v27, v7, v27 :: v_dual_mov_b32 v64, v44
	s_delay_alu instid0(VALU_DEP_2) | instskip(NEXT) | instid1(VALU_DEP_4)
	v_fma_f32 v7, v7, v26, -v46
	v_dual_mov_b32 v80, v86 :: v_dual_mov_b32 v39, v77
	v_mul_f32_e32 v77, v55, v29
	v_lshlrev_b64_e32 v[40:41], 3, v[53:54]
	v_fmac_f32_e32 v27, v26, v18
	v_lshlrev_b64_e32 v[53:54], 3, v[63:64]
	v_lshlrev_b64_e32 v[63:64], 3, v[79:80]
	v_mad_co_u64_u32 v[78:79], null, s9, v87, v[21:22]
	v_mul_f32_e32 v21, v10, v25
	v_mul_f32_e32 v25, v8, v25
	v_dual_mul_f32 v29, v0, v29 :: v_dual_mov_b32 v76, v45
	v_lshlrev_b64_e32 v[42:43], 3, v[57:58]
	s_delay_alu instid0(VALU_DEP_4) | instskip(NEXT) | instid1(VALU_DEP_4)
	v_fma_f32 v8, v8, v24, -v21
	v_fmac_f32_e32 v25, v24, v10
	s_delay_alu instid0(VALU_DEP_4)
	v_fmac_f32_e32 v29, v28, v55
	v_mov_b32_e32 v82, v36
	v_mad_co_u64_u32 v[36:37], null, s8, v95, 0
	v_dual_mul_f32 v21, v5, v66 :: v_dual_mul_f32 v24, v6, v68
	v_mul_f32_e32 v10, v23, v66
	v_add_co_u32 v40, vcc_lo, v91, v40
	s_delay_alu instid0(VALU_DEP_3) | instskip(NEXT) | instid1(VALU_DEP_4)
	v_fmac_f32_e32 v21, v65, v23
	v_dual_mov_b32 v35, v37 :: v_dual_fmac_f32 v24, v67, v17
	v_fma_f32 v0, v0, v28, -v77
	v_add_f32_e32 v26, v25, v27
	v_fma_f32 v10, v5, v65, -v10
	s_wait_loadcnt 0x1
	v_mul_f32_e32 v65, v3, v72
	v_mad_co_u64_u32 v[79:80], null, s9, v95, v[35:36]
	v_dual_mov_b32 v35, v78 :: v_dual_mul_f32 v78, v11, v31
	v_mul_f32_e32 v31, v9, v31
	s_wait_dscnt 0x4
	v_dual_add_f32 v28, v25, v88 :: v_dual_mul_f32 v23, v4, v70
	s_wait_alu 0xfffd
	v_add_co_ci_u32_e32 v41, vcc_lo, v92, v41, vcc_lo
	v_dual_fmac_f32 v31, v30, v11 :: v_dual_add_f32 v46, v16, v8
	v_mul_f32_e32 v18, v17, v68
	v_fma_f32 v9, v9, v30, -v78
	v_sub_f32_e32 v11, v8, v7
	v_dual_add_f32 v30, v8, v7 :: v_dual_fmac_f32 v23, v69, v22
	v_mul_f32_e32 v17, v22, v70
	v_add_f32_e32 v7, v46, v7
	v_fma_f32 v55, v6, v67, -v18
	v_dual_mul_f32 v18, v33, v72 :: v_dual_fmac_f32 v65, v71, v33
	v_add_f32_e32 v67, v29, v31
	v_lshlrev_b64_e32 v[44:45], 3, v[59:60]
	v_add_co_u32 v19, vcc_lo, v91, v19
	s_wait_alu 0xfffd
	v_add_co_ci_u32_e32 v20, vcc_lo, v92, v20, vcc_lo
	v_sub_f32_e32 v25, v25, v27
	v_fma_f32 v6, -0.5, v26, v88
	v_fma_f32 v5, -0.5, v30, v16
	v_sub_f32_e32 v66, v0, v9
	v_add_f32_e32 v8, v27, v28
	v_fma_f32 v72, v4, v69, -v17
	v_fma_f32 v77, v3, v71, -v18
	s_wait_loadcnt 0x0
	v_mul_f32_e32 v33, v56, v48
	v_add_f32_e32 v27, v21, v24
	v_sub_f32_e32 v46, v21, v24
	s_wait_dscnt 0x2
	v_fma_f32 v4, -0.5, v67, v90
	v_dual_add_f32 v28, v21, v89 :: v_dual_add_f32 v21, v14, v10
	v_add_f32_e32 v70, v0, v9
	v_add_co_u32 v42, vcc_lo, v91, v42
	s_wait_alu 0xfffd
	v_add_co_ci_u32_e32 v43, vcc_lo, v92, v43, vcc_lo
	v_add_f32_e32 v21, v21, v55
	v_add_co_u32 v44, vcc_lo, v91, v44
	v_dual_add_f32 v0, v15, v0 :: v_dual_mul_f32 v69, v32, v50
	v_add_f32_e32 v68, v29, v90
	v_sub_f32_e32 v29, v29, v31
	v_add_f32_e32 v30, v10, v55
	v_fma_f32 v3, -0.5, v70, v15
	v_fma_f32 v18, -0.5, v27, v89
	v_dual_add_f32 v27, v72, v77 :: v_dual_fmamk_f32 v16, v11, 0x3f5db3d7, v6
	v_dual_fmac_f32 v6, 0xbf5db3d7, v11 :: v_dual_add_f32 v11, v23, v65
	s_wait_alu 0xfffd
	v_add_co_ci_u32_e32 v45, vcc_lo, v92, v45, vcc_lo
	v_lshlrev_b64_e32 v[57:58], 3, v[73:74]
	v_add_co_u32 v51, vcc_lo, v91, v51
	s_wait_alu 0xfffd
	v_add_co_ci_u32_e32 v52, vcc_lo, v92, v52, vcc_lo
	v_lshlrev_b64_e32 v[59:60], 3, v[75:76]
	v_add_co_u32 v53, vcc_lo, v91, v53
	v_sub_f32_e32 v26, v10, v55
	v_mul_f32_e32 v48, v1, v48
	v_dual_mul_f32 v50, v2, v50 :: v_dual_add_f32 v9, v0, v9
	v_fmamk_f32 v15, v25, 0xbf5db3d7, v5
	v_fmac_f32_e32 v5, 0x3f5db3d7, v25
	v_fma_f32 v17, -0.5, v30, v14
	v_dual_add_f32 v10, v31, v68 :: v_dual_sub_f32 v25, v72, v77
	v_fma_f32 v30, v1, v47, -v33
	v_fma_f32 v2, v2, v49, -v69
	v_fmamk_f32 v1, v66, 0x3f5db3d7, v4
	v_fmac_f32_e32 v4, 0xbf5db3d7, v66
	v_fmamk_f32 v0, v29, 0xbf5db3d7, v3
	v_fmac_f32_e32 v3, 0x3f5db3d7, v29
	s_wait_dscnt 0x1
	v_fma_f32 v14, -0.5, v11, v93
	s_wait_alu 0xfffd
	v_add_co_ci_u32_e32 v54, vcc_lo, v92, v54, vcc_lo
	v_add_co_u32 v57, vcc_lo, v91, v57
	s_wait_alu 0xfffd
	v_add_co_ci_u32_e32 v58, vcc_lo, v92, v58, vcc_lo
	v_dual_add_f32 v22, v24, v28 :: v_dual_add_f32 v29, v30, v2
	global_store_b64 v[40:41], v[9:10], off
	v_fmamk_f32 v10, v26, 0x3f5db3d7, v18
	v_fmac_f32_e32 v18, 0xbf5db3d7, v26
	v_sub_f32_e32 v26, v30, v2
	v_add_f32_e32 v30, v12, v30
	v_fmac_f32_e32 v48, v47, v56
	v_add_f32_e32 v24, v23, v93
	v_dual_sub_f32 v28, v23, v65 :: v_dual_add_f32 v23, v13, v72
	s_clause 0x1
	global_store_b64 v[19:20], v[3:4], off
	global_store_b64 v[42:43], v[0:1], off
	v_fmamk_f32 v3, v25, 0x3f5db3d7, v14
	v_fmac_f32_e32 v50, v49, v32
	v_add_co_u32 v59, vcc_lo, v91, v59
	s_wait_alu 0xfffd
	v_add_co_ci_u32_e32 v60, vcc_lo, v92, v60, vcc_lo
	v_lshlrev_b64_e32 v[73:74], 3, v[81:82]
	v_add_co_u32 v61, vcc_lo, v91, v61
	v_add_f32_e32 v11, v48, v50
	s_wait_alu 0xfffd
	v_add_co_ci_u32_e32 v62, vcc_lo, v92, v62, vcc_lo
	v_lshlrev_b64_e32 v[75:76], 3, v[83:84]
	v_add_co_u32 v63, vcc_lo, v91, v63
	s_wait_alu 0xfffd
	v_add_co_ci_u32_e32 v64, vcc_lo, v92, v64, vcc_lo
	v_add_co_u32 v73, vcc_lo, v91, v73
	v_lshlrev_b64_e32 v[38:39], 3, v[38:39]
	s_wait_dscnt 0x0
	v_fma_f32 v1, -0.5, v11, v94
	v_mov_b32_e32 v37, v79
	s_wait_alu 0xfffd
	v_add_co_ci_u32_e32 v74, vcc_lo, v92, v74, vcc_lo
	v_add_co_u32 v75, vcc_lo, v91, v75
	v_lshlrev_b64_e32 v[34:35], 3, v[34:35]
	v_fma_f32 v13, -0.5, v27, v13
	v_add_f32_e32 v11, v30, v2
	v_add_f32_e32 v27, v48, v94
	s_wait_alu 0xfffd
	v_add_co_ci_u32_e32 v76, vcc_lo, v92, v76, vcc_lo
	v_fma_f32 v0, -0.5, v29, v12
	v_fmamk_f32 v20, v26, 0x3f5db3d7, v1
	v_fmac_f32_e32 v1, 0xbf5db3d7, v26
	v_sub_f32_e32 v31, v48, v50
	v_lshlrev_b64_e32 v[36:37], 3, v[36:37]
	v_add_co_u32 v38, vcc_lo, v91, v38
	s_wait_alu 0xfffd
	v_add_co_ci_u32_e32 v39, vcc_lo, v92, v39, vcc_lo
	v_add_co_u32 v34, vcc_lo, v91, v34
	v_add_f32_e32 v12, v50, v27
	v_dual_add_f32 v24, v65, v24 :: v_dual_fmamk_f32 v19, v31, 0xbf5db3d7, v0
	v_fmac_f32_e32 v0, 0x3f5db3d7, v31
	s_wait_alu 0xfffd
	v_add_co_ci_u32_e32 v35, vcc_lo, v92, v35, vcc_lo
	v_add_co_u32 v36, vcc_lo, v91, v36
	v_add_f32_e32 v23, v23, v77
	v_fmac_f32_e32 v14, 0xbf5db3d7, v25
	v_fmamk_f32 v2, v28, 0xbf5db3d7, v13
	v_fmac_f32_e32 v13, 0x3f5db3d7, v28
	s_wait_alu 0xfffd
	v_add_co_ci_u32_e32 v37, vcc_lo, v92, v37, vcc_lo
	v_fmamk_f32 v9, v46, 0xbf5db3d7, v17
	v_fmac_f32_e32 v17, 0x3f5db3d7, v46
	s_clause 0xb
	global_store_b64 v[44:45], v[11:12], off
	global_store_b64 v[51:52], v[0:1], off
	;; [unrolled: 1-line block ×12, first 2 shown]
.LBB0_15:
	s_nop 0
	s_sendmsg sendmsg(MSG_DEALLOC_VGPRS)
	s_endpgm
	.section	.rodata,"a",@progbits
	.p2align	6, 0x0
	.amdhsa_kernel fft_rtc_fwd_len3375_factors_5_5_5_3_3_3_wgs_225_tpt_225_halfLds_sp_ip_CI_sbrr_dirReg
		.amdhsa_group_segment_fixed_size 0
		.amdhsa_private_segment_fixed_size 0
		.amdhsa_kernarg_size 88
		.amdhsa_user_sgpr_count 2
		.amdhsa_user_sgpr_dispatch_ptr 0
		.amdhsa_user_sgpr_queue_ptr 0
		.amdhsa_user_sgpr_kernarg_segment_ptr 1
		.amdhsa_user_sgpr_dispatch_id 0
		.amdhsa_user_sgpr_private_segment_size 0
		.amdhsa_wavefront_size32 1
		.amdhsa_uses_dynamic_stack 0
		.amdhsa_enable_private_segment 0
		.amdhsa_system_sgpr_workgroup_id_x 1
		.amdhsa_system_sgpr_workgroup_id_y 0
		.amdhsa_system_sgpr_workgroup_id_z 0
		.amdhsa_system_sgpr_workgroup_info 0
		.amdhsa_system_vgpr_workitem_id 0
		.amdhsa_next_free_vgpr 107
		.amdhsa_next_free_sgpr 35
		.amdhsa_reserve_vcc 1
		.amdhsa_float_round_mode_32 0
		.amdhsa_float_round_mode_16_64 0
		.amdhsa_float_denorm_mode_32 3
		.amdhsa_float_denorm_mode_16_64 3
		.amdhsa_fp16_overflow 0
		.amdhsa_workgroup_processor_mode 1
		.amdhsa_memory_ordered 1
		.amdhsa_forward_progress 0
		.amdhsa_round_robin_scheduling 0
		.amdhsa_exception_fp_ieee_invalid_op 0
		.amdhsa_exception_fp_denorm_src 0
		.amdhsa_exception_fp_ieee_div_zero 0
		.amdhsa_exception_fp_ieee_overflow 0
		.amdhsa_exception_fp_ieee_underflow 0
		.amdhsa_exception_fp_ieee_inexact 0
		.amdhsa_exception_int_div_zero 0
	.end_amdhsa_kernel
	.text
.Lfunc_end0:
	.size	fft_rtc_fwd_len3375_factors_5_5_5_3_3_3_wgs_225_tpt_225_halfLds_sp_ip_CI_sbrr_dirReg, .Lfunc_end0-fft_rtc_fwd_len3375_factors_5_5_5_3_3_3_wgs_225_tpt_225_halfLds_sp_ip_CI_sbrr_dirReg
                                        ; -- End function
	.section	.AMDGPU.csdata,"",@progbits
; Kernel info:
; codeLenInByte = 13248
; NumSgprs: 37
; NumVgprs: 107
; ScratchSize: 0
; MemoryBound: 0
; FloatMode: 240
; IeeeMode: 1
; LDSByteSize: 0 bytes/workgroup (compile time only)
; SGPRBlocks: 4
; VGPRBlocks: 13
; NumSGPRsForWavesPerEU: 37
; NumVGPRsForWavesPerEU: 107
; Occupancy: 12
; WaveLimiterHint : 1
; COMPUTE_PGM_RSRC2:SCRATCH_EN: 0
; COMPUTE_PGM_RSRC2:USER_SGPR: 2
; COMPUTE_PGM_RSRC2:TRAP_HANDLER: 0
; COMPUTE_PGM_RSRC2:TGID_X_EN: 1
; COMPUTE_PGM_RSRC2:TGID_Y_EN: 0
; COMPUTE_PGM_RSRC2:TGID_Z_EN: 0
; COMPUTE_PGM_RSRC2:TIDIG_COMP_CNT: 0
	.text
	.p2alignl 7, 3214868480
	.fill 96, 4, 3214868480
	.type	__hip_cuid_3072f72f272499a4,@object ; @__hip_cuid_3072f72f272499a4
	.section	.bss,"aw",@nobits
	.globl	__hip_cuid_3072f72f272499a4
__hip_cuid_3072f72f272499a4:
	.byte	0                               ; 0x0
	.size	__hip_cuid_3072f72f272499a4, 1

	.ident	"AMD clang version 19.0.0git (https://github.com/RadeonOpenCompute/llvm-project roc-6.4.0 25133 c7fe45cf4b819c5991fe208aaa96edf142730f1d)"
	.section	".note.GNU-stack","",@progbits
	.addrsig
	.addrsig_sym __hip_cuid_3072f72f272499a4
	.amdgpu_metadata
---
amdhsa.kernels:
  - .args:
      - .actual_access:  read_only
        .address_space:  global
        .offset:         0
        .size:           8
        .value_kind:     global_buffer
      - .offset:         8
        .size:           8
        .value_kind:     by_value
      - .actual_access:  read_only
        .address_space:  global
        .offset:         16
        .size:           8
        .value_kind:     global_buffer
      - .actual_access:  read_only
        .address_space:  global
        .offset:         24
        .size:           8
        .value_kind:     global_buffer
      - .offset:         32
        .size:           8
        .value_kind:     by_value
      - .actual_access:  read_only
        .address_space:  global
        .offset:         40
        .size:           8
        .value_kind:     global_buffer
      - .actual_access:  read_only
        .address_space:  global
        .offset:         48
        .size:           8
        .value_kind:     global_buffer
      - .offset:         56
        .size:           4
        .value_kind:     by_value
      - .actual_access:  read_only
        .address_space:  global
        .offset:         64
        .size:           8
        .value_kind:     global_buffer
      - .actual_access:  read_only
        .address_space:  global
        .offset:         72
        .size:           8
        .value_kind:     global_buffer
      - .address_space:  global
        .offset:         80
        .size:           8
        .value_kind:     global_buffer
    .group_segment_fixed_size: 0
    .kernarg_segment_align: 8
    .kernarg_segment_size: 88
    .language:       OpenCL C
    .language_version:
      - 2
      - 0
    .max_flat_workgroup_size: 225
    .name:           fft_rtc_fwd_len3375_factors_5_5_5_3_3_3_wgs_225_tpt_225_halfLds_sp_ip_CI_sbrr_dirReg
    .private_segment_fixed_size: 0
    .sgpr_count:     37
    .sgpr_spill_count: 0
    .symbol:         fft_rtc_fwd_len3375_factors_5_5_5_3_3_3_wgs_225_tpt_225_halfLds_sp_ip_CI_sbrr_dirReg.kd
    .uniform_work_group_size: 1
    .uses_dynamic_stack: false
    .vgpr_count:     107
    .vgpr_spill_count: 0
    .wavefront_size: 32
    .workgroup_processor_mode: 1
amdhsa.target:   amdgcn-amd-amdhsa--gfx1201
amdhsa.version:
  - 1
  - 2
...

	.end_amdgpu_metadata
